;; amdgpu-corpus repo=pytorch/pytorch kind=compiled arch=gfx1100 opt=O3
	.text
	.amdgcn_target "amdgcn-amd-amdhsa--gfx1100"
	.amdhsa_code_object_version 6
	.section	.text._ZN2at6native12_GLOBAL__N_129ctc_loss_log_alpha_gpu_kernelIdlEEvPT_PKS3_PKllPKT0_S8_lS4_llllllS8_lll,"axG",@progbits,_ZN2at6native12_GLOBAL__N_129ctc_loss_log_alpha_gpu_kernelIdlEEvPT_PKS3_PKllPKT0_S8_lS4_llllllS8_lll,comdat
	.globl	_ZN2at6native12_GLOBAL__N_129ctc_loss_log_alpha_gpu_kernelIdlEEvPT_PKS3_PKllPKT0_S8_lS4_llllllS8_lll ; -- Begin function _ZN2at6native12_GLOBAL__N_129ctc_loss_log_alpha_gpu_kernelIdlEEvPT_PKS3_PKllPKT0_S8_lS4_llllllS8_lll
	.p2align	8
	.type	_ZN2at6native12_GLOBAL__N_129ctc_loss_log_alpha_gpu_kernelIdlEEvPT_PKS3_PKllPKT0_S8_lS4_llllllS8_lll,@function
_ZN2at6native12_GLOBAL__N_129ctc_loss_log_alpha_gpu_kernelIdlEEvPT_PKS3_PKllPKT0_S8_lS4_llllllS8_lll: ; @_ZN2at6native12_GLOBAL__N_129ctc_loss_log_alpha_gpu_kernelIdlEEvPT_PKS3_PKllPKT0_S8_lS4_llllllS8_lll
; %bb.0:
	s_clause 0x1
	s_load_b32 s2, s[0:1], 0x9c
	s_load_b128 s[16:19], s[0:1], 0x78
	v_bfe_u32 v1, v0, 10, 10
	s_add_u32 s28, s0, 0x90
	s_addc_u32 s29, s1, 0
	s_waitcnt lgkmcnt(0)
	s_lshr_b32 s2, s2, 16
	s_delay_alu instid0(SALU_CYCLE_1) | instskip(SKIP_2) | instid1(VALU_DEP_1)
	v_mad_u64_u32 v[7:8], null, s15, s2, v[1:2]
	v_mov_b32_e32 v8, 0
	s_mov_b32 s2, exec_lo
	v_cmpx_gt_i64_e64 s[18:19], v[7:8]
	s_cbranch_execz .LBB0_56
; %bb.1:
	s_clause 0x1
	s_load_b64 s[2:3], s[0:1], 0x10
	s_load_b64 s[4:5], s[0:1], 0x28
	v_lshlrev_b64 v[1:2], 3, v[7:8]
	s_load_b64 s[18:19], s[0:1], 0x38
	s_waitcnt lgkmcnt(0)
	s_delay_alu instid0(VALU_DEP_1) | instskip(NEXT) | instid1(VALU_DEP_2)
	v_add_co_u32 v3, vcc_lo, s2, v1
	v_add_co_ci_u32_e32 v4, vcc_lo, s3, v2, vcc_lo
	s_mov_b32 s2, exec_lo
	global_load_b64 v[5:6], v[3:4], off
	v_add_co_u32 v3, vcc_lo, s4, v1
	v_add_co_ci_u32_e32 v4, vcc_lo, s5, v2, vcc_lo
	global_load_b64 v[3:4], v[3:4], off
	s_waitcnt vmcnt(1)
	v_cmpx_ne_u64_e32 0, v[5:6]
	s_xor_b32 s33, exec_lo, s2
	s_cbranch_execz .LBB0_53
; %bb.2:
	s_clause 0x2
	s_load_b64 s[2:3], s[0:1], 0x70
	s_load_b128 s[12:15], s[0:1], 0x60
	s_load_b256 s[4:11], s[0:1], 0x40
	s_waitcnt lgkmcnt(0)
	v_add_co_u32 v8, vcc_lo, s2, v1
	v_add_co_ci_u32_e32 v9, vcc_lo, s3, v2, vcc_lo
	v_mad_u64_u32 v[10:11], null, v7, s6, 0
	v_mad_u64_u32 v[12:13], null, v7, s10, 0
	global_load_b64 v[8:9], v[8:9], off
	s_clause 0x3
	s_load_b64 s[26:27], s[0:1], 0x30
	s_load_b128 s[20:23], s[0:1], 0x0
	s_load_b64 s[30:31], s[0:1], 0x20
	s_load_b64 s[24:25], s[0:1], 0x88
	v_mad_u64_u32 v[14:15], null, v7, s7, v[11:12]
	s_delay_alu instid0(VALU_DEP_1) | instskip(SKIP_4) | instid1(VALU_DEP_3)
	v_mad_u64_u32 v[15:16], null, v7, s11, v[13:14]
	v_mov_b32_e32 v11, v14
	s_waitcnt lgkmcnt(0)
	v_cmp_gt_i64_e64 s3, s[26:27], -1
	s_lshl_b64 s[10:11], s[26:27], 1
	v_mov_b32_e32 v13, v15
	v_lshlrev_b64 v[15:16], 3, v[10:11]
	s_delay_alu instid0(VALU_DEP_3)
	s_and_b32 vcc_lo, exec_lo, s3
	s_waitcnt vmcnt(0)
	v_lshlrev_b64 v[9:10], 3, v[8:9]
	v_lshlrev_b64 v[7:8], 3, v[12:13]
	s_cbranch_vccz .LBB0_17
; %bb.3:
	v_and_b32_e32 v41, 0x3ff, v0
	s_load_b32 s6, s[28:29], 0xc
	v_cmp_ne_u64_e64 s2, 0, v[3:4]
	s_delay_alu instid0(VALU_DEP_2) | instskip(NEXT) | instid1(VALU_DEP_1)
	v_mad_u64_u32 v[13:14], null, s14, v41, 0
	v_mov_b32_e32 v11, v14
	s_delay_alu instid0(VALU_DEP_1) | instskip(SKIP_3) | instid1(VALU_DEP_4)
	v_mad_u64_u32 v[17:18], null, s15, v41, v[11:12]
	v_add_co_u32 v11, vcc_lo, s30, v9
	v_add_co_ci_u32_e32 v12, vcc_lo, s31, v10, vcc_lo
	v_add_co_u32 v23, vcc_lo, s22, v15
	v_mov_b32_e32 v14, v17
	v_add_co_ci_u32_e32 v24, vcc_lo, s23, v16, vcc_lo
	s_waitcnt lgkmcnt(0)
	s_and_b32 s36, s6, 0xffff
	s_delay_alu instid0(SALU_CYCLE_1)
	s_mul_i32 s6, s15, s36
	v_lshlrev_b64 v[13:14], 3, v[13:14]
	s_mul_hi_u32 s7, s14, s36
	s_mul_i32 s26, s14, s36
	s_add_i32 s27, s7, s6
	s_mov_b64 s[6:7], 0
	s_lshl_b64 s[26:27], s[26:27], 3
	v_add_co_u32 v13, vcc_lo, v13, v7
	v_add_co_ci_u32_e32 v14, vcc_lo, v14, v8, vcc_lo
	s_delay_alu instid0(VALU_DEP_2) | instskip(NEXT) | instid1(VALU_DEP_2)
	v_add_co_u32 v13, vcc_lo, s20, v13
	v_add_co_ci_u32_e32 v14, vcc_lo, s21, v14, vcc_lo
	s_branch .LBB0_5
.LBB0_4:                                ;   in Loop: Header=BB0_5 Depth=1
	s_or_b32 exec_lo, exec_lo, s34
	s_add_u32 s6, s6, s36
	s_addc_u32 s7, s7, 0
	v_add_co_u32 v13, vcc_lo, v13, s26
	v_cmp_gt_i64_e64 s34, s[6:7], s[10:11]
	v_add_co_ci_u32_e32 v14, vcc_lo, s27, v14, vcc_lo
	s_delay_alu instid0(VALU_DEP_2)
	s_and_b32 vcc_lo, exec_lo, s34
	s_cbranch_vccnz .LBB0_18
.LBB0_5:                                ; =>This Inner Loop Header: Depth=1
	v_add_co_u32 v17, s34, v41, s6
	s_delay_alu instid0(VALU_DEP_1) | instskip(SKIP_2) | instid1(VALU_DEP_1)
	v_add_co_ci_u32_e64 v18, null, 0, s7, s34
	s_mov_b32 s38, 0
	s_mov_b32 s37, exec_lo
                                        ; implicit-def: $vgpr19_vgpr20
                                        ; implicit-def: $sgpr34_sgpr35
	v_cmpx_lt_i64_e32 0, v[17:18]
	s_xor_b32 s37, exec_lo, s37
	s_cbranch_execz .LBB0_11
; %bb.6:                                ;   in Loop: Header=BB0_5 Depth=1
	s_mov_b32 s34, exec_lo
                                        ; implicit-def: $vgpr19_vgpr20
	v_cmpx_eq_u64_e32 1, v[17:18]
	s_cbranch_execz .LBB0_10
; %bb.7:                                ;   in Loop: Header=BB0_5 Depth=1
	s_mov_b32 s35, 0
                                        ; implicit-def: $vgpr19_vgpr20
	s_and_saveexec_b32 s38, s2
	s_delay_alu instid0(SALU_CYCLE_1)
	s_xor_b32 s38, exec_lo, s38
	s_cbranch_execz .LBB0_9
; %bb.8:                                ;   in Loop: Header=BB0_5 Depth=1
	global_load_b64 v[19:20], v[11:12], off
	s_mov_b32 s35, exec_lo
.LBB0_9:                                ;   in Loop: Header=BB0_5 Depth=1
	s_or_b32 exec_lo, exec_lo, s38
	s_delay_alu instid0(SALU_CYCLE_1)
	s_and_b32 s38, s35, exec_lo
.LBB0_10:                               ;   in Loop: Header=BB0_5 Depth=1
	s_or_b32 exec_lo, exec_lo, s34
	s_mov_b32 s34, 0
	s_mov_b32 s35, 0xfff00000
	s_and_b32 s38, s38, exec_lo
.LBB0_11:                               ;   in Loop: Header=BB0_5 Depth=1
	s_or_saveexec_b32 s37, s37
	s_waitcnt vmcnt(0)
	v_dual_mov_b32 v21, s34 :: v_dual_mov_b32 v22, s35
	s_xor_b32 exec_lo, exec_lo, s37
	s_cbranch_execz .LBB0_14
; %bb.12:                               ;   in Loop: Header=BB0_5 Depth=1
	v_cmp_eq_u64_e32 vcc_lo, 0, v[17:18]
	v_mov_b32_e32 v21, 0
	s_waitcnt vmcnt(0)
	v_dual_mov_b32 v19, s24 :: v_dual_mov_b32 v20, s25
	v_mov_b32_e32 v22, 0xfff00000
	s_and_not1_b32 s34, s38, exec_lo
	s_and_b32 s35, vcc_lo, exec_lo
	s_delay_alu instid0(SALU_CYCLE_1)
	s_or_b32 s38, s34, s35
	s_or_b32 exec_lo, exec_lo, s37
	s_and_saveexec_b32 s34, s38
	s_cbranch_execnz .LBB0_15
.LBB0_13:                               ;   in Loop: Header=BB0_5 Depth=1
	s_or_b32 exec_lo, exec_lo, s34
	s_delay_alu instid0(SALU_CYCLE_1)
	s_mov_b32 s34, exec_lo
	v_cmpx_ge_i64_e64 s[10:11], v[17:18]
	s_cbranch_execz .LBB0_4
	s_branch .LBB0_16
.LBB0_14:                               ;   in Loop: Header=BB0_5 Depth=1
	s_or_b32 exec_lo, exec_lo, s37
	s_and_saveexec_b32 s34, s38
	s_cbranch_execz .LBB0_13
.LBB0_15:                               ;   in Loop: Header=BB0_5 Depth=1
	s_waitcnt vmcnt(0)
	v_mul_lo_u32 v22, v20, s8
	v_mul_lo_u32 v25, v19, s9
	v_mad_u64_u32 v[20:21], null, v19, s8, 0
	s_delay_alu instid0(VALU_DEP_1) | instskip(NEXT) | instid1(VALU_DEP_1)
	v_add3_u32 v21, v21, v25, v22
	v_lshlrev_b64 v[19:20], 3, v[20:21]
	s_delay_alu instid0(VALU_DEP_1) | instskip(NEXT) | instid1(VALU_DEP_2)
	v_add_co_u32 v19, vcc_lo, v23, v19
	v_add_co_ci_u32_e32 v20, vcc_lo, v24, v20, vcc_lo
	global_load_b64 v[21:22], v[19:20], off
	s_or_b32 exec_lo, exec_lo, s34
	s_delay_alu instid0(SALU_CYCLE_1)
	s_mov_b32 s34, exec_lo
	v_cmpx_ge_i64_e64 s[10:11], v[17:18]
	s_cbranch_execz .LBB0_4
.LBB0_16:                               ;   in Loop: Header=BB0_5 Depth=1
	s_waitcnt vmcnt(0)
	global_store_b64 v[13:14], v[21:22], off
	s_branch .LBB0_4
.LBB0_17:
                                        ; implicit-def: $vgpr41
	s_cbranch_execnz .LBB0_19
	s_branch .LBB0_20
.LBB0_18:
	s_branch .LBB0_20
.LBB0_19:
	v_and_b32_e32 v41, 0x3ff, v0
.LBB0_20:
	v_cmp_lt_i64_e64 s2, 0, v[3:4]
	s_and_not1_b32 vcc_lo, exec_lo, s3
	s_cbranch_vccnz .LBB0_48
; %bb.21:
	s_load_b64 s[26:27], s[0:1], 0x18
	s_load_b32 s0, s[28:29], 0xc
	v_mad_u64_u32 v[13:14], null, s14, v41, 0
	v_add_co_u32 v0, vcc_lo, s30, v9
	v_add_co_ci_u32_e32 v42, vcc_lo, s31, v10, vcc_lo
	v_add_co_u32 v10, s1, v41, -2
	s_delay_alu instid0(VALU_DEP_4)
	v_mov_b32_e32 v11, v14
	s_waitcnt vmcnt(0)
	v_add_co_ci_u32_e64 v19, null, 0, -1, s1
	s_lshl_b64 s[30:31], s[12:13], 3
	v_mul_lo_u32 v21, s15, v10
	v_mad_u64_u32 v[17:18], null, s15, v41, v[11:12]
	s_delay_alu instid0(VALU_DEP_3)
	v_mul_lo_u32 v22, s14, v19
	v_mad_u64_u32 v[19:20], null, s14, v10, 0
	v_lshlrev_b64 v[11:12], 1, v[3:4]
	s_waitcnt lgkmcnt(0)
	s_and_b32 s85, s0, 0xffff
	s_add_u32 s3, s20, s30
	s_delay_alu instid0(VALU_DEP_4)
	v_mov_b32_e32 v14, v17
	s_mul_i32 s1, s15, s85
	s_mul_hi_u32 s7, s14, s85
	s_addc_u32 s6, s21, s31
	s_mul_i32 s0, s14, s85
	s_add_i32 s1, s7, s1
	v_add3_u32 v20, v20, v22, v21
	s_lshl_b64 s[34:35], s[0:1], 3
	v_add_co_u32 v10, s0, v41, -1
	s_delay_alu instid0(VALU_DEP_1) | instskip(SKIP_1) | instid1(VALU_DEP_3)
	v_add_co_ci_u32_e64 v23, null, 0, -1, s0
	v_lshlrev_b64 v[17:18], 3, v[13:14]
	v_mul_lo_u32 v24, s15, v10
	v_mad_u64_u32 v[21:22], null, s14, v10, 0
	s_delay_alu instid0(VALU_DEP_4) | instskip(SKIP_1) | instid1(VALU_DEP_4)
	v_mul_lo_u32 v23, s14, v23
	s_lshl_b64 s[36:37], s[4:5], 3
	v_add_co_u32 v13, vcc_lo, s3, v17
	s_add_u32 s0, s22, s36
	v_add_co_ci_u32_e32 v14, vcc_lo, s6, v18, vcc_lo
	s_addc_u32 s1, s23, s37
	s_delay_alu instid0(VALU_DEP_3)
	v_add3_u32 v22, v22, v23, v24
	v_add_co_u32 v15, vcc_lo, s0, v15
	v_lshlrev_b64 v[19:20], 3, v[19:20]
	v_add_co_ci_u32_e32 v16, vcc_lo, s1, v16, vcc_lo
	v_add_co_u32 v17, vcc_lo, s20, v17
	v_lshlrev_b64 v[21:22], 3, v[21:22]
	v_add_co_ci_u32_e32 v18, vcc_lo, s21, v18, vcc_lo
	v_add_co_u32 v19, vcc_lo, s20, v19
	v_add_co_ci_u32_e32 v20, vcc_lo, s21, v20, vcc_lo
	s_delay_alu instid0(VALU_DEP_4)
	v_add_co_u32 v21, vcc_lo, s20, v21
	v_cmp_gt_i64_e64 s84, s[26:27], 1
	v_mov_b32_e32 v9, 0
	v_add_co_ci_u32_e32 v22, vcc_lo, s21, v22, vcc_lo
	s_mov_b32 s22, 0x652b82fe
	s_mov_b32 s38, 0xfefa39ef
	;; [unrolled: 1-line block ×20, first 2 shown]
	s_mov_b64 s[28:29], 0
	s_lshl_b64 s[8:9], s[8:9], 3
	s_mov_b32 s23, 0x3ff71547
	s_mov_b32 s39, 0xbfe62e42
	s_mov_b32 s41, 0xbc7abc9e
	s_mov_b32 s43, 0x3e928af3
	s_mov_b32 s45, 0x3e5ade15
	s_mov_b32 s47, 0x3ec71dee
	s_mov_b32 s49, 0x3efa0199
	s_mov_b32 s51, 0x3f2a01a0
	s_mov_b32 s53, 0x3f56c16c
	s_mov_b32 s55, 0x3f811111
	s_mov_b32 s57, 0x3fa55555
	s_mov_b32 s59, 0x3fc55555
	s_mov_b32 s61, 0x3fe00000
	s_mov_b32 s63, 0x3fe55555
	s_mov_b32 s65, 0x3fc38538
	s_mov_b32 s67, 0x3fc3ab76
	s_mov_b32 s69, 0x3fc7474d
	s_mov_b32 s71, 0x3fcc71c0
	s_mov_b32 s73, 0x3fd24924
	s_mov_b32 s75, 0x3fd99999
	s_mov_b32 s76, 0x55555780
	s_mov_b32 s79, 0x3fe62e42
	s_mov_b32 s81, 0x3c7abc9e
	s_branch .LBB0_23
.LBB0_22:                               ;   in Loop: Header=BB0_23 Depth=1
	v_add_co_u32 v13, vcc_lo, v13, s34
	v_add_co_ci_u32_e32 v14, vcc_lo, s35, v14, vcc_lo
	v_add_co_u32 v17, vcc_lo, v17, s34
	s_add_u32 s28, s28, s85
	v_add_co_ci_u32_e32 v18, vcc_lo, s35, v18, vcc_lo
	s_addc_u32 s29, s29, 0
	v_add_co_u32 v19, vcc_lo, v19, s34
	v_cmp_gt_i64_e64 s0, s[28:29], s[10:11]
	v_add_co_ci_u32_e32 v20, vcc_lo, s35, v20, vcc_lo
	v_add_co_u32 v21, vcc_lo, v21, s34
	v_add_co_ci_u32_e32 v22, vcc_lo, s35, v22, vcc_lo
	s_delay_alu instid0(VALU_DEP_4)
	s_and_b32 vcc_lo, exec_lo, s0
	s_cbranch_vccnz .LBB0_48
.LBB0_23:                               ; =>This Loop Header: Depth=1
                                        ;     Child Loop BB0_34 Depth 2
	v_add_co_u32 v25, s0, s28, v41
	s_delay_alu instid0(VALU_DEP_1) | instskip(SKIP_3) | instid1(VALU_DEP_2)
	v_add_co_ci_u32_e64 v26, null, s29, 0, s0
	s_waitcnt vmcnt(0)
	v_dual_mov_b32 v28, s25 :: v_dual_mov_b32 v27, s24
	s_mov_b32 s86, 0
	v_cmp_le_i64_e64 s1, v[25:26], v[11:12]
	s_delay_alu instid0(VALU_DEP_1) | instskip(NEXT) | instid1(SALU_CYCLE_1)
	s_and_b32 s0, s2, s1
	s_and_saveexec_b32 s3, s0
	s_cbranch_execz .LBB0_31
; %bb.24:                               ;   in Loop: Header=BB0_23 Depth=1
	v_and_b32_e32 v10, 1, v25
	v_dual_mov_b32 v28, s25 :: v_dual_mov_b32 v27, s24
	s_delay_alu instid0(VALU_DEP_2)
	v_cmp_eq_u32_e32 vcc_lo, 1, v10
	s_and_saveexec_b32 s4, vcc_lo
	s_cbranch_execz .LBB0_26
; %bb.25:                               ;   in Loop: Header=BB0_23 Depth=1
	v_alignbit_b32 v10, v26, v25, 1
	v_lshrrev_b32_e32 v27, 1, v26
	s_delay_alu instid0(VALU_DEP_2) | instskip(SKIP_1) | instid1(VALU_DEP_3)
	v_mul_lo_u32 v28, v10, s17
	v_mad_u64_u32 v[23:24], null, v10, s16, 0
	v_mul_lo_u32 v10, v27, s16
	s_delay_alu instid0(VALU_DEP_1) | instskip(NEXT) | instid1(VALU_DEP_1)
	v_add3_u32 v24, v24, v28, v10
	v_lshlrev_b64 v[23:24], 3, v[23:24]
	s_delay_alu instid0(VALU_DEP_1) | instskip(NEXT) | instid1(VALU_DEP_1)
	v_add_co_u32 v23, s0, v0, v23
	v_add_co_ci_u32_e64 v24, s0, v42, v24, s0
	global_load_b64 v[27:28], v[23:24], off
.LBB0_26:                               ;   in Loop: Header=BB0_23 Depth=1
	s_or_b32 exec_lo, exec_lo, s4
	s_mov_b32 s5, 0
	s_mov_b32 s4, exec_lo
	v_cmpx_lt_u64_e32 1, v[25:26]
	s_cbranch_execz .LBB0_30
; %bb.27:                               ;   in Loop: Header=BB0_23 Depth=1
	v_dual_mov_b32 v23, s24 :: v_dual_mov_b32 v24, s25
	s_and_saveexec_b32 s0, vcc_lo
	s_cbranch_execz .LBB0_29
; %bb.28:                               ;   in Loop: Header=BB0_23 Depth=1
	v_add_co_u32 v10, vcc_lo, v25, -2
	v_add_co_ci_u32_e32 v24, vcc_lo, -1, v26, vcc_lo
	s_delay_alu instid0(VALU_DEP_1) | instskip(NEXT) | instid1(VALU_DEP_1)
	v_lshrrev_b32_e32 v23, 31, v24
	v_add_co_u32 v23, vcc_lo, v10, v23
	v_add_co_ci_u32_e32 v24, vcc_lo, 0, v24, vcc_lo
	s_delay_alu instid0(VALU_DEP_1) | instskip(NEXT) | instid1(VALU_DEP_1)
	v_ashrrev_i64 v[23:24], 1, v[23:24]
	v_mul_lo_u32 v10, v24, s16
	s_delay_alu instid0(VALU_DEP_2) | instskip(SKIP_1) | instid1(VALU_DEP_1)
	v_mul_lo_u32 v24, v23, s17
	v_mad_u64_u32 v[29:30], null, v23, s16, 0
	v_add3_u32 v30, v30, v24, v10
	s_delay_alu instid0(VALU_DEP_1) | instskip(NEXT) | instid1(VALU_DEP_1)
	v_lshlrev_b64 v[23:24], 3, v[29:30]
	v_add_co_u32 v23, vcc_lo, v0, v23
	s_delay_alu instid0(VALU_DEP_2)
	v_add_co_ci_u32_e32 v24, vcc_lo, v42, v24, vcc_lo
	global_load_b64 v[23:24], v[23:24], off
.LBB0_29:                               ;   in Loop: Header=BB0_23 Depth=1
	s_or_b32 exec_lo, exec_lo, s0
	s_waitcnt vmcnt(0)
	v_cmp_ne_u64_e32 vcc_lo, v[23:24], v[27:28]
	s_and_b32 s5, vcc_lo, exec_lo
.LBB0_30:                               ;   in Loop: Header=BB0_23 Depth=1
	s_or_b32 exec_lo, exec_lo, s4
	s_delay_alu instid0(SALU_CYCLE_1)
	s_and_b32 s86, s5, exec_lo
.LBB0_31:                               ;   in Loop: Header=BB0_23 Depth=1
	s_or_b32 exec_lo, exec_lo, s3
	s_delay_alu instid0(SALU_CYCLE_1)
	s_and_not1_b32 vcc_lo, exec_lo, s84
	s_cbranch_vccnz .LBB0_22
; %bb.32:                               ;   in Loop: Header=BB0_23 Depth=1
	s_waitcnt vmcnt(0)
	v_mad_u64_u32 v[23:24], null, s8, v27, v[15:16]
	v_mul_lo_u32 v10, s8, v28
	v_mul_lo_u32 v29, s9, v27
	v_cmp_ge_i64_e32 vcc_lo, s[10:11], v[25:26]
	v_cmp_ne_u64_e64 s0, 0, v[25:26]
	v_dual_mov_b32 v26, v22 :: v_dual_mov_b32 v25, v21
	v_dual_mov_b32 v28, v20 :: v_dual_mov_b32 v27, v19
	;; [unrolled: 1-line block ×3, first 2 shown]
	v_add3_u32 v24, v29, v24, v10
	v_dual_mov_b32 v30, v18 :: v_dual_mov_b32 v29, v17
	s_mov_b64 s[82:83], 1
	s_xor_b32 s87, s1, -1
	s_branch .LBB0_34
.LBB0_33:                               ;   in Loop: Header=BB0_34 Depth=2
	s_or_b32 exec_lo, exec_lo, s3
	v_add_co_u32 v31, s1, v31, s30
	s_delay_alu instid0(VALU_DEP_1) | instskip(SKIP_1) | instid1(VALU_DEP_1)
	v_add_co_ci_u32_e64 v32, s1, s31, v32, s1
	v_add_co_u32 v23, s1, v23, s36
	v_add_co_ci_u32_e64 v24, s1, s37, v24, s1
	v_add_co_u32 v29, s1, v29, s30
	s_delay_alu instid0(VALU_DEP_1) | instskip(SKIP_1) | instid1(VALU_DEP_1)
	v_add_co_ci_u32_e64 v30, s1, s31, v30, s1
	v_add_co_u32 v27, s1, v27, s30
	v_add_co_ci_u32_e64 v28, s1, s31, v28, s1
	v_add_co_u32 v25, s1, v25, s30
	s_add_u32 s82, s82, 1
	v_add_co_ci_u32_e64 v26, s1, s31, v26, s1
	s_addc_u32 s83, s83, 0
	s_delay_alu instid0(SALU_CYCLE_1)
	s_cmp_eq_u64 s[26:27], s[82:83]
	s_cbranch_scc1 .LBB0_22
.LBB0_34:                               ;   Parent Loop BB0_23 Depth=1
                                        ; =>  This Inner Loop Header: Depth=2
	v_cmp_ge_i64_e64 s1, s[82:83], v[5:6]
	s_mov_b32 s88, 0
	s_waitcnt_vscnt null, 0x0
	s_barrier
	buffer_gl0_inv
                                        ; implicit-def: $sgpr4_sgpr5
	s_or_b32 s1, s87, s1
	s_delay_alu instid0(SALU_CYCLE_1) | instskip(NEXT) | instid1(SALU_CYCLE_1)
	s_and_saveexec_b32 s3, s1
	s_xor_b32 s1, exec_lo, s3
; %bb.35:                               ;   in Loop: Header=BB0_34 Depth=2
	s_mov_b32 s4, 0
	s_mov_b32 s5, 0xfff00000
	s_and_b32 s88, vcc_lo, exec_lo
; %bb.36:                               ;   in Loop: Header=BB0_34 Depth=2
	s_or_saveexec_b32 s89, s1
	v_dual_mov_b32 v34, s5 :: v_dual_mov_b32 v33, s4
	s_xor_b32 exec_lo, exec_lo, s89
	s_cbranch_execz .LBB0_46
; %bb.37:                               ;   in Loop: Header=BB0_34 Depth=2
	v_add_co_u32 v33, s1, v29, v7
	s_delay_alu instid0(VALU_DEP_1)
	v_add_co_ci_u32_e64 v34, s1, v30, v8, s1
	global_load_b64 v[37:38], v[33:34], off
	v_mov_b32_e32 v33, 0
	v_mov_b32_e32 v34, 0xfff00000
	s_waitcnt vmcnt(0)
	v_dual_mov_b32 v40, v38 :: v_dual_mov_b32 v39, v37
	s_delay_alu instid0(VALU_DEP_2)
	v_dual_mov_b32 v36, v34 :: v_dual_mov_b32 v35, v33
	s_and_saveexec_b32 s3, s0
	s_cbranch_execz .LBB0_41
; %bb.38:                               ;   in Loop: Header=BB0_34 Depth=2
	v_add_co_u32 v35, s1, v25, v7
	s_delay_alu instid0(VALU_DEP_1)
	v_add_co_ci_u32_e64 v36, s1, v26, v8, s1
	v_dual_mov_b32 v40, v38 :: v_dual_mov_b32 v39, v37
	s_mov_b32 s4, exec_lo
	global_load_b64 v[35:36], v[35:36], off
	s_waitcnt vmcnt(0)
	v_cmpx_gt_f64_e32 v[35:36], v[37:38]
; %bb.39:                               ;   in Loop: Header=BB0_34 Depth=2
	v_dual_mov_b32 v40, v36 :: v_dual_mov_b32 v39, v35
; %bb.40:                               ;   in Loop: Header=BB0_34 Depth=2
	s_or_b32 exec_lo, exec_lo, s4
.LBB0_41:                               ;   in Loop: Header=BB0_34 Depth=2
	s_delay_alu instid0(SALU_CYCLE_1)
	s_or_b32 exec_lo, exec_lo, s3
	s_and_saveexec_b32 s3, s86
	s_cbranch_execz .LBB0_45
; %bb.42:                               ;   in Loop: Header=BB0_34 Depth=2
	v_add_co_u32 v33, s1, v27, v7
	s_delay_alu instid0(VALU_DEP_1)
	v_add_co_ci_u32_e64 v34, s1, v28, v8, s1
	s_mov_b32 s4, exec_lo
	global_load_b64 v[33:34], v[33:34], off
	s_waitcnt vmcnt(0)
	v_cmpx_gt_f64_e32 v[33:34], v[39:40]
; %bb.43:                               ;   in Loop: Header=BB0_34 Depth=2
	v_dual_mov_b32 v40, v34 :: v_dual_mov_b32 v39, v33
; %bb.44:                               ;   in Loop: Header=BB0_34 Depth=2
	s_or_b32 exec_lo, exec_lo, s4
.LBB0_45:                               ;   in Loop: Header=BB0_34 Depth=2
	s_delay_alu instid0(SALU_CYCLE_1) | instskip(NEXT) | instid1(VALU_DEP_1)
	s_or_b32 exec_lo, exec_lo, s3
	v_cmp_neq_f64_e64 s1, 0xfff00000, v[39:40]
	s_mov_b32 s77, s63
	s_mov_b32 s78, s38
	;; [unrolled: 1-line block ×3, first 2 shown]
	s_or_b32 s88, s88, exec_lo
	s_delay_alu instid0(VALU_DEP_1) | instskip(SKIP_1) | instid1(VALU_DEP_1)
	v_cndmask_b32_e64 v40, 0, v40, s1
	v_cndmask_b32_e64 v39, 0, v39, s1
	v_add_f64 v[37:38], v[37:38], -v[39:40]
	v_add_f64 v[35:36], v[35:36], -v[39:40]
	;; [unrolled: 1-line block ×3, first 2 shown]
	s_delay_alu instid0(VALU_DEP_3) | instskip(NEXT) | instid1(VALU_DEP_3)
	v_mul_f64 v[43:44], v[37:38], s[22:23]
	v_mul_f64 v[45:46], v[35:36], s[22:23]
	s_delay_alu instid0(VALU_DEP_3)
	v_mul_f64 v[47:48], v[33:34], s[22:23]
	v_cmp_nlt_f64_e64 s1, 0x40900000, v[37:38]
	v_cmp_nlt_f64_e64 s4, 0x40900000, v[35:36]
	v_cmp_ngt_f64_e64 s3, 0xc090cc00, v[37:38]
	v_cmp_ngt_f64_e64 s5, 0xc090cc00, v[35:36]
	v_cmp_nlt_f64_e64 s6, 0x40900000, v[33:34]
	v_cmp_ngt_f64_e64 s7, 0xc090cc00, v[33:34]
	v_rndne_f64_e32 v[43:44], v[43:44]
	v_rndne_f64_e32 v[45:46], v[45:46]
	;; [unrolled: 1-line block ×3, first 2 shown]
	s_delay_alu instid0(VALU_DEP_3) | instskip(NEXT) | instid1(VALU_DEP_3)
	v_fma_f64 v[49:50], v[43:44], s[38:39], v[37:38]
	v_fma_f64 v[51:52], v[45:46], s[38:39], v[35:36]
	s_delay_alu instid0(VALU_DEP_3) | instskip(SKIP_1) | instid1(VALU_DEP_4)
	v_fma_f64 v[53:54], v[47:48], s[38:39], v[33:34]
	v_cvt_i32_f64_e32 v10, v[43:44]
	v_fma_f64 v[49:50], v[43:44], s[40:41], v[49:50]
	s_delay_alu instid0(VALU_DEP_4) | instskip(NEXT) | instid1(VALU_DEP_4)
	v_fma_f64 v[51:52], v[45:46], s[40:41], v[51:52]
	v_fma_f64 v[53:54], v[47:48], s[40:41], v[53:54]
	s_delay_alu instid0(VALU_DEP_3) | instskip(NEXT) | instid1(VALU_DEP_3)
	v_fma_f64 v[55:56], v[49:50], s[44:45], s[42:43]
	v_fma_f64 v[57:58], v[51:52], s[44:45], s[42:43]
	s_delay_alu instid0(VALU_DEP_3) | instskip(NEXT) | instid1(VALU_DEP_3)
	;; [unrolled: 3-line block ×14, first 2 shown]
	v_fma_f64 v[59:60], v[53:54], v[59:60], s[60:61]
	v_fma_f64 v[55:56], v[49:50], v[55:56], 1.0
	s_delay_alu instid0(VALU_DEP_3) | instskip(NEXT) | instid1(VALU_DEP_3)
	v_fma_f64 v[57:58], v[51:52], v[57:58], 1.0
	v_fma_f64 v[59:60], v[53:54], v[59:60], 1.0
	s_delay_alu instid0(VALU_DEP_3) | instskip(SKIP_1) | instid1(VALU_DEP_4)
	v_fma_f64 v[43:44], v[49:50], v[55:56], 1.0
	v_cvt_i32_f64_e32 v49, v[45:46]
	v_fma_f64 v[45:46], v[51:52], v[57:58], 1.0
	v_cvt_i32_f64_e32 v50, v[47:48]
	v_fma_f64 v[47:48], v[53:54], v[59:60], 1.0
	v_ldexp_f64 v[43:44], v[43:44], v10
	s_delay_alu instid0(VALU_DEP_4) | instskip(NEXT) | instid1(VALU_DEP_3)
	v_ldexp_f64 v[45:46], v[45:46], v49
	v_ldexp_f64 v[47:48], v[47:48], v50
	s_delay_alu instid0(VALU_DEP_3) | instskip(SKIP_1) | instid1(VALU_DEP_3)
	v_cndmask_b32_e64 v10, 0x7ff00000, v44, s1
	s_and_b32 s1, s3, s1
	v_cndmask_b32_e64 v37, 0x7ff00000, v46, s4
	v_cndmask_b32_e64 v33, 0, v43, s1
	s_and_b32 s1, s5, s4
	v_cndmask_b32_e64 v34, 0, v10, s3
	v_cndmask_b32_e64 v35, 0, v45, s1
	;; [unrolled: 1-line block ×4, first 2 shown]
	s_and_b32 s1, s7, s6
	s_delay_alu instid0(VALU_DEP_2) | instskip(NEXT) | instid1(VALU_DEP_2)
	v_add_f64 v[33:34], v[33:34], v[35:36]
	v_cndmask_b32_e64 v36, 0, v38, s7
	v_cndmask_b32_e64 v35, 0, v47, s1
	s_delay_alu instid0(VALU_DEP_1) | instskip(NEXT) | instid1(VALU_DEP_1)
	v_add_f64 v[33:34], v[35:36], v[33:34]
	v_frexp_mant_f64_e32 v[35:36], v[33:34]
	s_delay_alu instid0(VALU_DEP_1) | instskip(NEXT) | instid1(VALU_DEP_1)
	v_cmp_gt_f64_e64 s1, s[62:63], v[35:36]
	v_cndmask_b32_e64 v10, 0x3ff00000, 2.0, s1
	s_delay_alu instid0(VALU_DEP_1) | instskip(SKIP_1) | instid1(VALU_DEP_2)
	v_mul_f64 v[35:36], v[35:36], v[9:10]
	v_frexp_exp_i32_f64_e32 v10, v[33:34]
	v_add_f64 v[37:38], v[35:36], 1.0
	v_add_f64 v[47:48], v[35:36], -1.0
	s_delay_alu instid0(VALU_DEP_3) | instskip(SKIP_1) | instid1(VALU_DEP_4)
	v_subrev_co_ci_u32_e64 v10, s1, 0, v10, s1
	v_cmp_class_f64_e64 s1, v[33:34], 0x204
	v_rcp_f64_e32 v[43:44], v[37:38]
	v_add_f64 v[49:50], v[37:38], -1.0
	s_delay_alu instid0(VALU_DEP_1) | instskip(SKIP_2) | instid1(VALU_DEP_1)
	v_add_f64 v[35:36], v[35:36], -v[49:50]
	s_waitcnt_depctr 0xfff
	v_fma_f64 v[45:46], -v[37:38], v[43:44], 1.0
	v_fma_f64 v[43:44], v[45:46], v[43:44], v[43:44]
	s_delay_alu instid0(VALU_DEP_1) | instskip(NEXT) | instid1(VALU_DEP_1)
	v_fma_f64 v[45:46], -v[37:38], v[43:44], 1.0
	v_fma_f64 v[43:44], v[45:46], v[43:44], v[43:44]
	s_delay_alu instid0(VALU_DEP_1) | instskip(NEXT) | instid1(VALU_DEP_1)
	v_mul_f64 v[45:46], v[47:48], v[43:44]
	v_mul_f64 v[51:52], v[37:38], v[45:46]
	s_delay_alu instid0(VALU_DEP_1) | instskip(NEXT) | instid1(VALU_DEP_1)
	v_fma_f64 v[37:38], v[45:46], v[37:38], -v[51:52]
	v_fma_f64 v[35:36], v[45:46], v[35:36], v[37:38]
	s_delay_alu instid0(VALU_DEP_1) | instskip(NEXT) | instid1(VALU_DEP_1)
	v_add_f64 v[37:38], v[51:52], v[35:36]
	v_add_f64 v[49:50], v[47:48], -v[37:38]
	v_add_f64 v[51:52], v[37:38], -v[51:52]
	s_delay_alu instid0(VALU_DEP_2) | instskip(NEXT) | instid1(VALU_DEP_2)
	v_add_f64 v[47:48], v[47:48], -v[49:50]
	v_add_f64 v[35:36], v[51:52], -v[35:36]
	s_delay_alu instid0(VALU_DEP_2) | instskip(NEXT) | instid1(VALU_DEP_1)
	v_add_f64 v[37:38], v[47:48], -v[37:38]
	v_add_f64 v[35:36], v[35:36], v[37:38]
	s_delay_alu instid0(VALU_DEP_1) | instskip(NEXT) | instid1(VALU_DEP_1)
	v_add_f64 v[35:36], v[49:50], v[35:36]
	v_mul_f64 v[35:36], v[43:44], v[35:36]
	s_delay_alu instid0(VALU_DEP_1) | instskip(NEXT) | instid1(VALU_DEP_1)
	v_add_f64 v[37:38], v[45:46], v[35:36]
	v_mul_f64 v[43:44], v[37:38], v[37:38]
	s_delay_alu instid0(VALU_DEP_1) | instskip(SKIP_1) | instid1(VALU_DEP_2)
	v_fma_f64 v[47:48], v[43:44], s[66:67], s[64:65]
	v_mul_f64 v[49:50], v[37:38], v[43:44]
	v_fma_f64 v[47:48], v[43:44], v[47:48], s[68:69]
	s_delay_alu instid0(VALU_DEP_1) | instskip(NEXT) | instid1(VALU_DEP_1)
	v_fma_f64 v[47:48], v[43:44], v[47:48], s[70:71]
	v_fma_f64 v[47:48], v[43:44], v[47:48], s[72:73]
	s_delay_alu instid0(VALU_DEP_1) | instskip(NEXT) | instid1(VALU_DEP_1)
	v_fma_f64 v[47:48], v[43:44], v[47:48], s[74:75]
	v_fma_f64 v[43:44], v[43:44], v[47:48], s[76:77]
	v_ldexp_f64 v[47:48], v[37:38], 1
	v_add_f64 v[37:38], v[37:38], -v[45:46]
	s_delay_alu instid0(VALU_DEP_3) | instskip(SKIP_1) | instid1(VALU_DEP_3)
	v_mul_f64 v[43:44], v[49:50], v[43:44]
	v_cvt_f64_i32_e32 v[49:50], v10
	v_add_f64 v[35:36], v[35:36], -v[37:38]
	s_delay_alu instid0(VALU_DEP_3) | instskip(NEXT) | instid1(VALU_DEP_3)
	v_add_f64 v[45:46], v[47:48], v[43:44]
	v_mul_f64 v[51:52], v[49:50], s[78:79]
	s_delay_alu instid0(VALU_DEP_3) | instskip(NEXT) | instid1(VALU_DEP_3)
	v_ldexp_f64 v[35:36], v[35:36], 1
	v_add_f64 v[37:38], v[45:46], -v[47:48]
	s_delay_alu instid0(VALU_DEP_3) | instskip(NEXT) | instid1(VALU_DEP_2)
	v_fma_f64 v[47:48], v[49:50], s[78:79], -v[51:52]
	v_add_f64 v[37:38], v[43:44], -v[37:38]
	s_delay_alu instid0(VALU_DEP_2) | instskip(NEXT) | instid1(VALU_DEP_2)
	v_fma_f64 v[43:44], v[49:50], s[80:81], v[47:48]
	v_add_f64 v[35:36], v[35:36], v[37:38]
	s_delay_alu instid0(VALU_DEP_2) | instskip(NEXT) | instid1(VALU_DEP_2)
	v_add_f64 v[37:38], v[51:52], v[43:44]
	v_add_f64 v[47:48], v[45:46], v[35:36]
	s_delay_alu instid0(VALU_DEP_2) | instskip(NEXT) | instid1(VALU_DEP_2)
	v_add_f64 v[51:52], v[37:38], -v[51:52]
	v_add_f64 v[49:50], v[37:38], v[47:48]
	v_add_f64 v[45:46], v[47:48], -v[45:46]
	s_delay_alu instid0(VALU_DEP_3) | instskip(NEXT) | instid1(VALU_DEP_3)
	v_add_f64 v[43:44], v[43:44], -v[51:52]
	v_add_f64 v[53:54], v[49:50], -v[37:38]
	s_delay_alu instid0(VALU_DEP_3) | instskip(NEXT) | instid1(VALU_DEP_2)
	v_add_f64 v[35:36], v[35:36], -v[45:46]
	v_add_f64 v[55:56], v[49:50], -v[53:54]
	;; [unrolled: 1-line block ×3, first 2 shown]
	s_delay_alu instid0(VALU_DEP_3) | instskip(SKIP_2) | instid1(VALU_DEP_1)
	v_add_f64 v[51:52], v[43:44], v[35:36]
	global_load_b64 v[47:48], v[23:24], off
	v_add_f64 v[37:38], v[37:38], -v[55:56]
	v_add_f64 v[37:38], v[45:46], v[37:38]
	v_add_f64 v[45:46], v[51:52], -v[43:44]
	s_delay_alu instid0(VALU_DEP_2) | instskip(NEXT) | instid1(VALU_DEP_2)
	v_add_f64 v[37:38], v[51:52], v[37:38]
	v_add_f64 v[51:52], v[51:52], -v[45:46]
	v_add_f64 v[35:36], v[35:36], -v[45:46]
	s_delay_alu instid0(VALU_DEP_3) | instskip(NEXT) | instid1(VALU_DEP_3)
	v_add_f64 v[53:54], v[49:50], v[37:38]
	v_add_f64 v[43:44], v[43:44], -v[51:52]
	s_delay_alu instid0(VALU_DEP_2) | instskip(NEXT) | instid1(VALU_DEP_2)
	v_add_f64 v[45:46], v[53:54], -v[49:50]
	v_add_f64 v[35:36], v[35:36], v[43:44]
	s_delay_alu instid0(VALU_DEP_2) | instskip(NEXT) | instid1(VALU_DEP_1)
	v_add_f64 v[37:38], v[37:38], -v[45:46]
	v_add_f64 v[35:36], v[35:36], v[37:38]
	s_delay_alu instid0(VALU_DEP_1) | instskip(NEXT) | instid1(VALU_DEP_1)
	v_add_f64 v[35:36], v[53:54], v[35:36]
	v_cndmask_b32_e64 v10, v35, v33, s1
	s_delay_alu instid0(VALU_DEP_2) | instskip(SKIP_1) | instid1(VALU_DEP_1)
	v_cndmask_b32_e64 v35, v36, v34, s1
	v_cmp_ngt_f64_e64 s1, 0, v[33:34]
	v_cndmask_b32_e64 v36, 0x7ff80000, v35, s1
	v_cmp_nge_f64_e64 s1, 0, v[33:34]
	s_delay_alu instid0(VALU_DEP_1) | instskip(SKIP_1) | instid1(VALU_DEP_1)
	v_cndmask_b32_e64 v35, 0, v10, s1
	v_cmp_neq_f64_e64 s1, 0, v[33:34]
	v_cndmask_b32_e64 v36, 0xfff00000, v36, s1
	s_delay_alu instid0(VALU_DEP_1) | instskip(SKIP_1) | instid1(VALU_DEP_1)
	v_add_f64 v[33:34], v[39:40], v[35:36]
	s_waitcnt vmcnt(0)
	v_add_f64 v[33:34], v[47:48], v[33:34]
.LBB0_46:                               ;   in Loop: Header=BB0_34 Depth=2
	s_or_b32 exec_lo, exec_lo, s89
	s_and_saveexec_b32 s3, s88
	s_cbranch_execz .LBB0_33
; %bb.47:                               ;   in Loop: Header=BB0_34 Depth=2
	v_add_co_u32 v35, s1, v31, v7
	s_delay_alu instid0(VALU_DEP_1)
	v_add_co_ci_u32_e64 v36, s1, v32, v8, s1
	global_store_b64 v[35:36], v[33:34], off
	s_branch .LBB0_33
.LBB0_48:
	s_mov_b32 s3, exec_lo
	s_waitcnt vmcnt(0)
	s_waitcnt_vscnt null, 0x0
	s_barrier
	buffer_gl0_inv
	v_cmpx_eq_u32_e32 0, v41
	s_cbranch_execz .LBB0_52
; %bb.49:
	v_add_co_u32 v0, vcc_lo, v5, -1
	v_add_co_ci_u32_e32 v5, vcc_lo, -1, v6, vcc_lo
	v_mul_lo_u32 v13, v3, s15
	s_delay_alu instid0(VALU_DEP_3) | instskip(SKIP_1) | instid1(VALU_DEP_4)
	v_mul_lo_u32 v12, v0, s13
	v_mad_u64_u32 v[9:10], null, v3, s14, 0
	v_mul_lo_u32 v11, v5, s12
	v_mad_u64_u32 v[5:6], null, v0, s12, 0
	v_mul_lo_u32 v0, v4, s14
	s_delay_alu instid0(VALU_DEP_2) | instskip(NEXT) | instid1(VALU_DEP_2)
	v_add3_u32 v6, v6, v12, v11
	v_add3_u32 v10, v10, v13, v0
	v_add_co_u32 v0, vcc_lo, s20, v7
	s_delay_alu instid0(VALU_DEP_3) | instskip(SKIP_1) | instid1(VALU_DEP_4)
	v_lshlrev_b64 v[5:6], 3, v[5:6]
	v_add_co_ci_u32_e32 v7, vcc_lo, s21, v8, vcc_lo
	v_lshlrev_b64 v[11:12], 4, v[9:10]
	s_delay_alu instid0(VALU_DEP_3) | instskip(NEXT) | instid1(VALU_DEP_3)
	v_add_co_u32 v0, vcc_lo, v0, v5
	v_add_co_ci_u32_e32 v7, vcc_lo, v7, v6, vcc_lo
	s_delay_alu instid0(VALU_DEP_2) | instskip(NEXT) | instid1(VALU_DEP_2)
	v_add_co_u32 v5, vcc_lo, v0, v11
	v_add_co_ci_u32_e32 v6, vcc_lo, v7, v12, vcc_lo
	v_cmp_lt_i64_e32 vcc_lo, 0, v[3:4]
	v_mov_b32_e32 v3, 0
	v_mov_b32_e32 v4, 0xfff00000
	global_load_b64 v[5:6], v[5:6], off
	s_and_saveexec_b32 s0, vcc_lo
	s_cbranch_execz .LBB0_51
; %bb.50:
	v_lshlrev_b64 v[3:4], 1, v[9:10]
	s_delay_alu instid0(VALU_DEP_1) | instskip(NEXT) | instid1(VALU_DEP_2)
	v_sub_co_u32 v3, vcc_lo, v3, s14
	v_subrev_co_ci_u32_e32 v4, vcc_lo, s15, v4, vcc_lo
	s_delay_alu instid0(VALU_DEP_1) | instskip(NEXT) | instid1(VALU_DEP_1)
	v_lshlrev_b64 v[3:4], 3, v[3:4]
	v_add_co_u32 v3, vcc_lo, v0, v3
	s_delay_alu instid0(VALU_DEP_2)
	v_add_co_ci_u32_e32 v4, vcc_lo, v7, v4, vcc_lo
	global_load_b64 v[3:4], v[3:4], off
.LBB0_51:
	s_or_b32 exec_lo, exec_lo, s0
	s_waitcnt vmcnt(0)
	v_cmp_gt_f64_e32 vcc_lo, v[5:6], v[3:4]
	s_mov_b32 s0, 0x652b82fe
	s_mov_b32 s1, 0x3ff71547
	;; [unrolled: 1-line block ×10, first 2 shown]
	v_dual_cndmask_b32 v8, v4, v6 :: v_dual_cndmask_b32 v7, v3, v5
	s_delay_alu instid0(VALU_DEP_1) | instskip(SKIP_1) | instid1(VALU_DEP_1)
	v_cmp_neq_f64_e32 vcc_lo, 0xfff00000, v[7:8]
	v_dual_cndmask_b32 v8, 0, v8 :: v_dual_cndmask_b32 v7, 0, v7
	v_add_f64 v[5:6], v[5:6], -v[7:8]
	v_add_f64 v[3:4], v[3:4], -v[7:8]
	s_delay_alu instid0(VALU_DEP_2) | instskip(NEXT) | instid1(VALU_DEP_2)
	v_mul_f64 v[9:10], v[5:6], s[0:1]
	v_mul_f64 v[11:12], v[3:4], s[0:1]
	s_mov_b32 s0, 0xfca7ab0c
	s_mov_b32 s1, 0x3e928af3
	v_cmp_nlt_f64_e32 vcc_lo, 0x40900000, v[5:6]
	v_cmp_ngt_f64_e64 s2, 0xc090cc00, v[3:4]
	s_delay_alu instid0(VALU_DEP_4) | instskip(NEXT) | instid1(VALU_DEP_4)
	v_rndne_f64_e32 v[9:10], v[9:10]
	v_rndne_f64_e32 v[11:12], v[11:12]
	s_delay_alu instid0(VALU_DEP_2) | instskip(NEXT) | instid1(VALU_DEP_2)
	v_fma_f64 v[13:14], v[9:10], s[6:7], v[5:6]
	v_fma_f64 v[15:16], v[11:12], s[6:7], v[3:4]
	v_cvt_i32_f64_e32 v0, v[9:10]
	s_mov_b32 s7, 0x3fe62e42
	s_delay_alu instid0(VALU_DEP_3) | instskip(NEXT) | instid1(VALU_DEP_3)
	v_fma_f64 v[13:14], v[9:10], s[4:5], v[13:14]
	v_fma_f64 v[15:16], v[11:12], s[4:5], v[15:16]
	s_mov_b32 s5, 0x3c7abc9e
	s_delay_alu instid0(VALU_DEP_2) | instskip(NEXT) | instid1(VALU_DEP_2)
	v_fma_f64 v[17:18], v[13:14], s[8:9], s[0:1]
	v_fma_f64 v[19:20], v[15:16], s[8:9], s[0:1]
	s_mov_b32 s0, 0x623fde64
	s_mov_b32 s1, 0x3ec71dee
	;; [unrolled: 1-line block ×4, first 2 shown]
	s_delay_alu instid0(VALU_DEP_2) | instskip(NEXT) | instid1(VALU_DEP_2)
	v_fma_f64 v[17:18], v[13:14], v[17:18], s[0:1]
	v_fma_f64 v[19:20], v[15:16], v[19:20], s[0:1]
	s_mov_b32 s0, 0x7c89e6b0
	s_mov_b32 s1, 0x3efa0199
	s_delay_alu instid0(VALU_DEP_2) | instid1(SALU_CYCLE_1)
	v_fma_f64 v[17:18], v[13:14], v[17:18], s[0:1]
	s_delay_alu instid0(VALU_DEP_2)
	v_fma_f64 v[19:20], v[15:16], v[19:20], s[0:1]
	s_mov_b32 s0, 0x14761f6e
	s_mov_b32 s1, 0x3f2a01a0
	s_delay_alu instid0(VALU_DEP_2) | instid1(SALU_CYCLE_1)
	v_fma_f64 v[17:18], v[13:14], v[17:18], s[0:1]
	s_delay_alu instid0(VALU_DEP_2)
	v_fma_f64 v[19:20], v[15:16], v[19:20], s[0:1]
	s_mov_b32 s0, 0x1852b7b0
	s_mov_b32 s1, 0x3f56c16c
	s_delay_alu instid0(VALU_DEP_2) | instid1(SALU_CYCLE_1)
	v_fma_f64 v[17:18], v[13:14], v[17:18], s[0:1]
	s_delay_alu instid0(VALU_DEP_2)
	v_fma_f64 v[19:20], v[15:16], v[19:20], s[0:1]
	s_mov_b32 s0, 0x11122322
	s_mov_b32 s1, 0x3f811111
	s_delay_alu instid0(VALU_DEP_2) | instid1(SALU_CYCLE_1)
	v_fma_f64 v[17:18], v[13:14], v[17:18], s[0:1]
	s_delay_alu instid0(VALU_DEP_2)
	v_fma_f64 v[19:20], v[15:16], v[19:20], s[0:1]
	s_mov_b32 s0, 0x555502a1
	s_mov_b32 s1, 0x3fa55555
	s_delay_alu instid0(VALU_DEP_2) | instid1(SALU_CYCLE_1)
	v_fma_f64 v[17:18], v[13:14], v[17:18], s[0:1]
	s_delay_alu instid0(VALU_DEP_2)
	v_fma_f64 v[19:20], v[15:16], v[19:20], s[0:1]
	s_mov_b32 s0, 0x55555511
	s_mov_b32 s1, 0x3fc55555
	s_delay_alu instid0(VALU_DEP_2) | instid1(SALU_CYCLE_1)
	v_fma_f64 v[17:18], v[13:14], v[17:18], s[0:1]
	s_delay_alu instid0(VALU_DEP_2)
	v_fma_f64 v[19:20], v[15:16], v[19:20], s[0:1]
	s_mov_b32 s0, 11
	s_mov_b32 s1, 0x3fe00000
	s_delay_alu instid0(VALU_DEP_2) | instid1(SALU_CYCLE_1)
	v_fma_f64 v[17:18], v[13:14], v[17:18], s[0:1]
	s_delay_alu instid0(VALU_DEP_2) | instskip(SKIP_2) | instid1(VALU_DEP_4)
	v_fma_f64 v[19:20], v[15:16], v[19:20], s[0:1]
	v_cmp_nlt_f64_e64 s1, 0x40900000, v[3:4]
	v_cmp_ngt_f64_e64 s0, 0xc090cc00, v[5:6]
	v_fma_f64 v[17:18], v[13:14], v[17:18], 1.0
	s_delay_alu instid0(VALU_DEP_4) | instskip(NEXT) | instid1(VALU_DEP_2)
	v_fma_f64 v[19:20], v[15:16], v[19:20], 1.0
	v_fma_f64 v[9:10], v[13:14], v[17:18], 1.0
	v_cvt_i32_f64_e32 v13, v[11:12]
	s_delay_alu instid0(VALU_DEP_3) | instskip(NEXT) | instid1(VALU_DEP_3)
	v_fma_f64 v[11:12], v[15:16], v[19:20], 1.0
	v_ldexp_f64 v[9:10], v[9:10], v0
	s_delay_alu instid0(VALU_DEP_2) | instskip(NEXT) | instid1(VALU_DEP_2)
	v_ldexp_f64 v[11:12], v[11:12], v13
	v_cndmask_b32_e32 v0, 0x7ff00000, v10, vcc_lo
	s_and_b32 vcc_lo, s0, vcc_lo
	s_delay_alu instid0(VALU_DEP_2) | instskip(NEXT) | instid1(VALU_DEP_4)
	v_cndmask_b32_e64 v5, 0x7ff00000, v12, s1
	v_cndmask_b32_e32 v3, 0, v9, vcc_lo
	v_mov_b32_e32 v9, 0
	s_and_b32 vcc_lo, s2, s1
	v_cndmask_b32_e64 v4, 0, v0, s0
	v_cndmask_b32_e64 v6, 0, v5, s2
	v_cndmask_b32_e32 v5, 0, v11, vcc_lo
	s_mov_b32 s1, 0x3fe55555
	s_mov_b32 s0, 0x55555555
	s_delay_alu instid0(VALU_DEP_1) | instskip(NEXT) | instid1(VALU_DEP_1)
	v_add_f64 v[3:4], v[3:4], v[5:6]
	v_frexp_mant_f64_e32 v[5:6], v[3:4]
	v_frexp_exp_i32_f64_e32 v0, v[3:4]
	s_delay_alu instid0(VALU_DEP_2) | instskip(SKIP_2) | instid1(VALU_DEP_3)
	v_cmp_gt_f64_e32 vcc_lo, s[0:1], v[5:6]
	s_mov_b32 s0, 0x55555780
	v_cndmask_b32_e64 v10, 0x3ff00000, 2.0, vcc_lo
	v_subrev_co_ci_u32_e32 v0, vcc_lo, 0, v0, vcc_lo
	v_cmp_class_f64_e64 vcc_lo, v[3:4], 0x204
	s_delay_alu instid0(VALU_DEP_3) | instskip(NEXT) | instid1(VALU_DEP_1)
	v_mul_f64 v[5:6], v[5:6], v[9:10]
	v_add_f64 v[9:10], v[5:6], 1.0
	v_add_f64 v[15:16], v[5:6], -1.0
	s_delay_alu instid0(VALU_DEP_2) | instskip(SKIP_1) | instid1(VALU_DEP_1)
	v_rcp_f64_e32 v[11:12], v[9:10]
	v_add_f64 v[17:18], v[9:10], -1.0
	v_add_f64 v[5:6], v[5:6], -v[17:18]
	s_waitcnt_depctr 0xfff
	v_fma_f64 v[13:14], -v[9:10], v[11:12], 1.0
	s_delay_alu instid0(VALU_DEP_1) | instskip(NEXT) | instid1(VALU_DEP_1)
	v_fma_f64 v[11:12], v[13:14], v[11:12], v[11:12]
	v_fma_f64 v[13:14], -v[9:10], v[11:12], 1.0
	s_delay_alu instid0(VALU_DEP_1) | instskip(NEXT) | instid1(VALU_DEP_1)
	v_fma_f64 v[11:12], v[13:14], v[11:12], v[11:12]
	v_mul_f64 v[13:14], v[15:16], v[11:12]
	s_delay_alu instid0(VALU_DEP_1) | instskip(NEXT) | instid1(VALU_DEP_1)
	v_mul_f64 v[19:20], v[9:10], v[13:14]
	v_fma_f64 v[9:10], v[13:14], v[9:10], -v[19:20]
	s_delay_alu instid0(VALU_DEP_1) | instskip(NEXT) | instid1(VALU_DEP_1)
	v_fma_f64 v[5:6], v[13:14], v[5:6], v[9:10]
	v_add_f64 v[9:10], v[19:20], v[5:6]
	s_delay_alu instid0(VALU_DEP_1) | instskip(SKIP_1) | instid1(VALU_DEP_2)
	v_add_f64 v[17:18], v[15:16], -v[9:10]
	v_add_f64 v[19:20], v[9:10], -v[19:20]
	;; [unrolled: 1-line block ×3, first 2 shown]
	s_delay_alu instid0(VALU_DEP_2) | instskip(NEXT) | instid1(VALU_DEP_2)
	v_add_f64 v[5:6], v[19:20], -v[5:6]
	v_add_f64 v[9:10], v[15:16], -v[9:10]
	s_delay_alu instid0(VALU_DEP_1) | instskip(NEXT) | instid1(VALU_DEP_1)
	v_add_f64 v[5:6], v[5:6], v[9:10]
	v_add_f64 v[5:6], v[17:18], v[5:6]
	s_delay_alu instid0(VALU_DEP_1) | instskip(NEXT) | instid1(VALU_DEP_1)
	v_mul_f64 v[5:6], v[11:12], v[5:6]
	v_add_f64 v[9:10], v[13:14], v[5:6]
	s_delay_alu instid0(VALU_DEP_1) | instskip(NEXT) | instid1(VALU_DEP_1)
	v_mul_f64 v[11:12], v[9:10], v[9:10]
	v_fma_f64 v[15:16], v[11:12], s[10:11], s[8:9]
	s_mov_b32 s8, 0xd7f4df2e
	s_mov_b32 s9, 0x3fc7474d
	v_mul_f64 v[17:18], v[9:10], v[11:12]
	s_delay_alu instid0(VALU_DEP_2)
	v_fma_f64 v[15:16], v[11:12], v[15:16], s[8:9]
	s_mov_b32 s8, 0x16291751
	s_mov_b32 s9, 0x3fcc71c0
	s_delay_alu instid0(VALU_DEP_1) | instid1(SALU_CYCLE_1)
	v_fma_f64 v[15:16], v[11:12], v[15:16], s[8:9]
	s_mov_b32 s8, 0x9b27acf1
	s_mov_b32 s9, 0x3fd24924
	s_delay_alu instid0(VALU_DEP_1) | instid1(SALU_CYCLE_1)
	;; [unrolled: 4-line block ×3, first 2 shown]
	v_fma_f64 v[15:16], v[11:12], v[15:16], s[8:9]
	s_delay_alu instid0(VALU_DEP_1) | instskip(SKIP_2) | instid1(VALU_DEP_3)
	v_fma_f64 v[11:12], v[11:12], v[15:16], s[0:1]
	v_ldexp_f64 v[15:16], v[9:10], 1
	v_add_f64 v[9:10], v[9:10], -v[13:14]
	v_mul_f64 v[11:12], v[17:18], v[11:12]
	v_cvt_f64_i32_e32 v[17:18], v0
	s_delay_alu instid0(VALU_DEP_3) | instskip(NEXT) | instid1(VALU_DEP_3)
	v_add_f64 v[5:6], v[5:6], -v[9:10]
	v_add_f64 v[13:14], v[15:16], v[11:12]
	s_delay_alu instid0(VALU_DEP_3) | instskip(NEXT) | instid1(VALU_DEP_3)
	v_mul_f64 v[19:20], v[17:18], s[6:7]
	v_ldexp_f64 v[5:6], v[5:6], 1
	s_delay_alu instid0(VALU_DEP_3) | instskip(NEXT) | instid1(VALU_DEP_3)
	v_add_f64 v[9:10], v[13:14], -v[15:16]
	v_fma_f64 v[15:16], v[17:18], s[6:7], -v[19:20]
	s_delay_alu instid0(VALU_DEP_2) | instskip(NEXT) | instid1(VALU_DEP_2)
	v_add_f64 v[9:10], v[11:12], -v[9:10]
	v_fma_f64 v[11:12], v[17:18], s[4:5], v[15:16]
	s_delay_alu instid0(VALU_DEP_2) | instskip(NEXT) | instid1(VALU_DEP_2)
	v_add_f64 v[5:6], v[5:6], v[9:10]
	v_add_f64 v[9:10], v[19:20], v[11:12]
	s_delay_alu instid0(VALU_DEP_2) | instskip(NEXT) | instid1(VALU_DEP_2)
	v_add_f64 v[15:16], v[13:14], v[5:6]
	v_add_f64 v[19:20], v[9:10], -v[19:20]
	s_delay_alu instid0(VALU_DEP_2) | instskip(SKIP_1) | instid1(VALU_DEP_3)
	v_add_f64 v[17:18], v[9:10], v[15:16]
	v_add_f64 v[13:14], v[15:16], -v[13:14]
	v_add_f64 v[11:12], v[11:12], -v[19:20]
	s_delay_alu instid0(VALU_DEP_3) | instskip(NEXT) | instid1(VALU_DEP_3)
	v_add_f64 v[21:22], v[17:18], -v[9:10]
	v_add_f64 v[5:6], v[5:6], -v[13:14]
	s_delay_alu instid0(VALU_DEP_2) | instskip(SKIP_1) | instid1(VALU_DEP_3)
	v_add_f64 v[23:24], v[17:18], -v[21:22]
	v_add_f64 v[13:14], v[15:16], -v[21:22]
	v_add_f64 v[15:16], v[11:12], v[5:6]
	s_delay_alu instid0(VALU_DEP_3) | instskip(NEXT) | instid1(VALU_DEP_1)
	v_add_f64 v[9:10], v[9:10], -v[23:24]
	v_add_f64 v[9:10], v[13:14], v[9:10]
	s_delay_alu instid0(VALU_DEP_3) | instskip(NEXT) | instid1(VALU_DEP_2)
	v_add_f64 v[13:14], v[15:16], -v[11:12]
	v_add_f64 v[9:10], v[15:16], v[9:10]
	s_delay_alu instid0(VALU_DEP_2) | instskip(SKIP_1) | instid1(VALU_DEP_3)
	v_add_f64 v[15:16], v[15:16], -v[13:14]
	v_add_f64 v[5:6], v[5:6], -v[13:14]
	v_add_f64 v[19:20], v[17:18], v[9:10]
	s_delay_alu instid0(VALU_DEP_3) | instskip(NEXT) | instid1(VALU_DEP_2)
	v_add_f64 v[11:12], v[11:12], -v[15:16]
	v_add_f64 v[13:14], v[19:20], -v[17:18]
	s_delay_alu instid0(VALU_DEP_2) | instskip(NEXT) | instid1(VALU_DEP_2)
	v_add_f64 v[5:6], v[5:6], v[11:12]
	v_add_f64 v[9:10], v[9:10], -v[13:14]
	s_delay_alu instid0(VALU_DEP_1) | instskip(NEXT) | instid1(VALU_DEP_1)
	v_add_f64 v[5:6], v[5:6], v[9:10]
	v_add_f64 v[5:6], v[19:20], v[5:6]
	s_delay_alu instid0(VALU_DEP_1) | instskip(SKIP_1) | instid1(VALU_DEP_2)
	v_dual_cndmask_b32 v0, v5, v3 :: v_dual_cndmask_b32 v5, v6, v4
	v_cmp_ngt_f64_e32 vcc_lo, 0, v[3:4]
	v_cndmask_b32_e32 v6, 0x7ff80000, v5, vcc_lo
	v_cmp_nge_f64_e32 vcc_lo, 0, v[3:4]
	s_delay_alu instid0(VALU_DEP_4) | instskip(SKIP_1) | instid1(VALU_DEP_4)
	v_cndmask_b32_e32 v5, 0, v0, vcc_lo
	v_cmp_neq_f64_e32 vcc_lo, 0, v[3:4]
	v_cndmask_b32_e32 v6, 0xfff00000, v6, vcc_lo
	v_add_co_u32 v0, vcc_lo, s18, v1
	v_add_co_ci_u32_e32 v1, vcc_lo, s19, v2, vcc_lo
	s_delay_alu instid0(VALU_DEP_3) | instskip(NEXT) | instid1(VALU_DEP_1)
	v_add_f64 v[3:4], v[7:8], v[5:6]
	v_xor_b32_e32 v4, 0x80000000, v4
	global_store_b64 v[0:1], v[3:4], off
.LBB0_52:
	s_or_b32 exec_lo, exec_lo, s3
                                        ; implicit-def: $vgpr0
                                        ; implicit-def: $vgpr1_vgpr2
                                        ; implicit-def: $vgpr3_vgpr4
.LBB0_53:
	s_and_not1_saveexec_b32 s0, s33
	s_cbranch_execz .LBB0_56
; %bb.54:
	v_and_b32_e32 v0, 0x3ff, v0
	s_delay_alu instid0(VALU_DEP_1)
	v_cmp_eq_u32_e32 vcc_lo, 0, v0
	s_and_b32 exec_lo, exec_lo, vcc_lo
	s_cbranch_execz .LBB0_56
; %bb.55:
	v_add_co_u32 v0, vcc_lo, s18, v1
	v_add_co_ci_u32_e32 v1, vcc_lo, s19, v2, vcc_lo
	s_waitcnt vmcnt(0)
	v_cmp_eq_u64_e32 vcc_lo, 0, v[3:4]
	v_bfrev_b32_e32 v5, 1
	s_delay_alu instid0(VALU_DEP_1)
	v_dual_mov_b32 v2, 0 :: v_dual_cndmask_b32 v3, 0x7ff00000, v5
	global_store_b64 v[0:1], v[2:3], off
.LBB0_56:
	s_nop 0
	s_sendmsg sendmsg(MSG_DEALLOC_VGPRS)
	s_endpgm
	.section	.rodata,"a",@progbits
	.p2align	6, 0x0
	.amdhsa_kernel _ZN2at6native12_GLOBAL__N_129ctc_loss_log_alpha_gpu_kernelIdlEEvPT_PKS3_PKllPKT0_S8_lS4_llllllS8_lll
		.amdhsa_group_segment_fixed_size 0
		.amdhsa_private_segment_fixed_size 0
		.amdhsa_kernarg_size 400
		.amdhsa_user_sgpr_count 14
		.amdhsa_user_sgpr_dispatch_ptr 0
		.amdhsa_user_sgpr_queue_ptr 0
		.amdhsa_user_sgpr_kernarg_segment_ptr 1
		.amdhsa_user_sgpr_dispatch_id 0
		.amdhsa_user_sgpr_private_segment_size 0
		.amdhsa_wavefront_size32 1
		.amdhsa_uses_dynamic_stack 0
		.amdhsa_enable_private_segment 0
		.amdhsa_system_sgpr_workgroup_id_x 1
		.amdhsa_system_sgpr_workgroup_id_y 1
		.amdhsa_system_sgpr_workgroup_id_z 0
		.amdhsa_system_sgpr_workgroup_info 0
		.amdhsa_system_vgpr_workitem_id 1
		.amdhsa_next_free_vgpr 61
		.amdhsa_next_free_sgpr 90
		.amdhsa_reserve_vcc 1
		.amdhsa_float_round_mode_32 0
		.amdhsa_float_round_mode_16_64 0
		.amdhsa_float_denorm_mode_32 3
		.amdhsa_float_denorm_mode_16_64 3
		.amdhsa_dx10_clamp 1
		.amdhsa_ieee_mode 1
		.amdhsa_fp16_overflow 0
		.amdhsa_workgroup_processor_mode 1
		.amdhsa_memory_ordered 1
		.amdhsa_forward_progress 0
		.amdhsa_shared_vgpr_count 0
		.amdhsa_exception_fp_ieee_invalid_op 0
		.amdhsa_exception_fp_denorm_src 0
		.amdhsa_exception_fp_ieee_div_zero 0
		.amdhsa_exception_fp_ieee_overflow 0
		.amdhsa_exception_fp_ieee_underflow 0
		.amdhsa_exception_fp_ieee_inexact 0
		.amdhsa_exception_int_div_zero 0
	.end_amdhsa_kernel
	.section	.text._ZN2at6native12_GLOBAL__N_129ctc_loss_log_alpha_gpu_kernelIdlEEvPT_PKS3_PKllPKT0_S8_lS4_llllllS8_lll,"axG",@progbits,_ZN2at6native12_GLOBAL__N_129ctc_loss_log_alpha_gpu_kernelIdlEEvPT_PKS3_PKllPKT0_S8_lS4_llllllS8_lll,comdat
.Lfunc_end0:
	.size	_ZN2at6native12_GLOBAL__N_129ctc_loss_log_alpha_gpu_kernelIdlEEvPT_PKS3_PKllPKT0_S8_lS4_llllllS8_lll, .Lfunc_end0-_ZN2at6native12_GLOBAL__N_129ctc_loss_log_alpha_gpu_kernelIdlEEvPT_PKS3_PKllPKT0_S8_lS4_llllllS8_lll
                                        ; -- End function
	.section	.AMDGPU.csdata,"",@progbits
; Kernel info:
; codeLenInByte = 6236
; NumSgprs: 92
; NumVgprs: 61
; ScratchSize: 0
; MemoryBound: 0
; FloatMode: 240
; IeeeMode: 1
; LDSByteSize: 0 bytes/workgroup (compile time only)
; SGPRBlocks: 11
; VGPRBlocks: 7
; NumSGPRsForWavesPerEU: 92
; NumVGPRsForWavesPerEU: 61
; Occupancy: 14
; WaveLimiterHint : 1
; COMPUTE_PGM_RSRC2:SCRATCH_EN: 0
; COMPUTE_PGM_RSRC2:USER_SGPR: 14
; COMPUTE_PGM_RSRC2:TRAP_HANDLER: 0
; COMPUTE_PGM_RSRC2:TGID_X_EN: 1
; COMPUTE_PGM_RSRC2:TGID_Y_EN: 1
; COMPUTE_PGM_RSRC2:TGID_Z_EN: 0
; COMPUTE_PGM_RSRC2:TIDIG_COMP_CNT: 1
	.section	.text._ZN2at6native12_GLOBAL__N_129ctc_loss_log_alpha_gpu_kernelIdiEEvPT_PKS3_PKllPKT0_S8_lS4_llllllS8_lll,"axG",@progbits,_ZN2at6native12_GLOBAL__N_129ctc_loss_log_alpha_gpu_kernelIdiEEvPT_PKS3_PKllPKT0_S8_lS4_llllllS8_lll,comdat
	.globl	_ZN2at6native12_GLOBAL__N_129ctc_loss_log_alpha_gpu_kernelIdiEEvPT_PKS3_PKllPKT0_S8_lS4_llllllS8_lll ; -- Begin function _ZN2at6native12_GLOBAL__N_129ctc_loss_log_alpha_gpu_kernelIdiEEvPT_PKS3_PKllPKT0_S8_lS4_llllllS8_lll
	.p2align	8
	.type	_ZN2at6native12_GLOBAL__N_129ctc_loss_log_alpha_gpu_kernelIdiEEvPT_PKS3_PKllPKT0_S8_lS4_llllllS8_lll,@function
_ZN2at6native12_GLOBAL__N_129ctc_loss_log_alpha_gpu_kernelIdiEEvPT_PKS3_PKllPKT0_S8_lS4_llllllS8_lll: ; @_ZN2at6native12_GLOBAL__N_129ctc_loss_log_alpha_gpu_kernelIdiEEvPT_PKS3_PKllPKT0_S8_lS4_llllllS8_lll
; %bb.0:
	s_clause 0x1
	s_load_b32 s2, s[0:1], 0x9c
	s_load_b128 s[16:19], s[0:1], 0x78
	v_bfe_u32 v1, v0, 10, 10
	s_add_u32 s28, s0, 0x90
	s_addc_u32 s29, s1, 0
	s_waitcnt lgkmcnt(0)
	s_lshr_b32 s2, s2, 16
	s_delay_alu instid0(SALU_CYCLE_1) | instskip(SKIP_2) | instid1(VALU_DEP_1)
	v_mad_u64_u32 v[7:8], null, s15, s2, v[1:2]
	v_mov_b32_e32 v8, 0
	s_mov_b32 s2, exec_lo
	v_cmpx_gt_i64_e64 s[18:19], v[7:8]
	s_cbranch_execz .LBB1_56
; %bb.1:
	s_clause 0x1
	s_load_b64 s[2:3], s[0:1], 0x10
	s_load_b64 s[4:5], s[0:1], 0x28
	v_lshlrev_b64 v[1:2], 3, v[7:8]
	s_load_b64 s[18:19], s[0:1], 0x38
	s_waitcnt lgkmcnt(0)
	s_delay_alu instid0(VALU_DEP_1) | instskip(NEXT) | instid1(VALU_DEP_2)
	v_add_co_u32 v3, vcc_lo, s2, v1
	v_add_co_ci_u32_e32 v4, vcc_lo, s3, v2, vcc_lo
	s_mov_b32 s2, exec_lo
	global_load_b64 v[5:6], v[3:4], off
	v_add_co_u32 v3, vcc_lo, s4, v1
	v_add_co_ci_u32_e32 v4, vcc_lo, s5, v2, vcc_lo
	global_load_b64 v[3:4], v[3:4], off
	s_waitcnt vmcnt(1)
	v_cmpx_ne_u64_e32 0, v[5:6]
	s_xor_b32 s33, exec_lo, s2
	s_cbranch_execz .LBB1_53
; %bb.2:
	s_clause 0x2
	s_load_b64 s[2:3], s[0:1], 0x70
	s_load_b128 s[12:15], s[0:1], 0x60
	s_load_b256 s[4:11], s[0:1], 0x40
	s_waitcnt lgkmcnt(0)
	v_add_co_u32 v8, vcc_lo, s2, v1
	v_add_co_ci_u32_e32 v9, vcc_lo, s3, v2, vcc_lo
	v_mad_u64_u32 v[10:11], null, v7, s6, 0
	v_mad_u64_u32 v[12:13], null, v7, s10, 0
	global_load_b64 v[8:9], v[8:9], off
	s_clause 0x3
	s_load_b64 s[26:27], s[0:1], 0x30
	s_load_b128 s[20:23], s[0:1], 0x0
	s_load_b64 s[30:31], s[0:1], 0x20
	s_load_b64 s[24:25], s[0:1], 0x88
	v_mad_u64_u32 v[14:15], null, v7, s7, v[11:12]
	s_delay_alu instid0(VALU_DEP_1) | instskip(SKIP_4) | instid1(VALU_DEP_3)
	v_mad_u64_u32 v[15:16], null, v7, s11, v[13:14]
	v_mov_b32_e32 v11, v14
	s_waitcnt lgkmcnt(0)
	v_cmp_gt_i64_e64 s3, s[26:27], -1
	s_lshl_b64 s[10:11], s[26:27], 1
	v_mov_b32_e32 v13, v15
	v_lshlrev_b64 v[15:16], 3, v[10:11]
	s_delay_alu instid0(VALU_DEP_3)
	s_and_b32 vcc_lo, exec_lo, s3
	s_waitcnt vmcnt(0)
	v_lshlrev_b64 v[9:10], 2, v[8:9]
	v_lshlrev_b64 v[7:8], 3, v[12:13]
	s_cbranch_vccz .LBB1_17
; %bb.3:
	v_and_b32_e32 v41, 0x3ff, v0
	s_load_b32 s6, s[28:29], 0xc
	v_cmp_ne_u64_e64 s2, 0, v[3:4]
	s_delay_alu instid0(VALU_DEP_2) | instskip(NEXT) | instid1(VALU_DEP_1)
	v_mad_u64_u32 v[13:14], null, s14, v41, 0
	v_mov_b32_e32 v11, v14
	s_delay_alu instid0(VALU_DEP_1) | instskip(SKIP_3) | instid1(VALU_DEP_4)
	v_mad_u64_u32 v[17:18], null, s15, v41, v[11:12]
	v_add_co_u32 v11, vcc_lo, s30, v9
	v_add_co_ci_u32_e32 v12, vcc_lo, s31, v10, vcc_lo
	v_add_co_u32 v23, vcc_lo, s22, v15
	v_mov_b32_e32 v14, v17
	v_add_co_ci_u32_e32 v24, vcc_lo, s23, v16, vcc_lo
	s_waitcnt lgkmcnt(0)
	s_and_b32 s36, s6, 0xffff
	s_delay_alu instid0(SALU_CYCLE_1)
	s_mul_i32 s6, s15, s36
	v_lshlrev_b64 v[13:14], 3, v[13:14]
	s_mul_hi_u32 s7, s14, s36
	s_mul_i32 s26, s14, s36
	s_add_i32 s27, s7, s6
	s_mov_b64 s[6:7], 0
	s_lshl_b64 s[26:27], s[26:27], 3
	v_add_co_u32 v13, vcc_lo, v13, v7
	v_add_co_ci_u32_e32 v14, vcc_lo, v14, v8, vcc_lo
	s_delay_alu instid0(VALU_DEP_2) | instskip(NEXT) | instid1(VALU_DEP_2)
	v_add_co_u32 v13, vcc_lo, s20, v13
	v_add_co_ci_u32_e32 v14, vcc_lo, s21, v14, vcc_lo
	s_branch .LBB1_5
.LBB1_4:                                ;   in Loop: Header=BB1_5 Depth=1
	s_or_b32 exec_lo, exec_lo, s34
	s_add_u32 s6, s6, s36
	s_addc_u32 s7, s7, 0
	v_add_co_u32 v13, vcc_lo, v13, s26
	v_cmp_gt_i64_e64 s34, s[6:7], s[10:11]
	v_add_co_ci_u32_e32 v14, vcc_lo, s27, v14, vcc_lo
	s_delay_alu instid0(VALU_DEP_2)
	s_and_b32 vcc_lo, exec_lo, s34
	s_cbranch_vccnz .LBB1_18
.LBB1_5:                                ; =>This Inner Loop Header: Depth=1
	v_add_co_u32 v17, s34, v41, s6
	s_delay_alu instid0(VALU_DEP_1) | instskip(SKIP_2) | instid1(VALU_DEP_1)
	v_add_co_ci_u32_e64 v18, null, 0, s7, s34
	s_mov_b32 s38, 0
	s_mov_b32 s37, exec_lo
                                        ; implicit-def: $vgpr19_vgpr20
                                        ; implicit-def: $sgpr34_sgpr35
	v_cmpx_lt_i64_e32 0, v[17:18]
	s_xor_b32 s37, exec_lo, s37
	s_cbranch_execz .LBB1_11
; %bb.6:                                ;   in Loop: Header=BB1_5 Depth=1
	s_mov_b32 s34, exec_lo
                                        ; implicit-def: $vgpr19_vgpr20
	v_cmpx_eq_u64_e32 1, v[17:18]
	s_cbranch_execz .LBB1_10
; %bb.7:                                ;   in Loop: Header=BB1_5 Depth=1
	s_mov_b32 s35, 0
                                        ; implicit-def: $vgpr19_vgpr20
	s_and_saveexec_b32 s38, s2
	s_delay_alu instid0(SALU_CYCLE_1)
	s_xor_b32 s38, exec_lo, s38
	s_cbranch_execz .LBB1_9
; %bb.8:                                ;   in Loop: Header=BB1_5 Depth=1
	global_load_b32 v19, v[11:12], off
	s_mov_b32 s35, exec_lo
	s_waitcnt vmcnt(0)
	v_ashrrev_i32_e32 v20, 31, v19
.LBB1_9:                                ;   in Loop: Header=BB1_5 Depth=1
	s_or_b32 exec_lo, exec_lo, s38
	s_delay_alu instid0(SALU_CYCLE_1)
	s_and_b32 s38, s35, exec_lo
.LBB1_10:                               ;   in Loop: Header=BB1_5 Depth=1
	s_or_b32 exec_lo, exec_lo, s34
	s_mov_b32 s34, 0
	s_mov_b32 s35, 0xfff00000
	s_and_b32 s38, s38, exec_lo
.LBB1_11:                               ;   in Loop: Header=BB1_5 Depth=1
	s_or_saveexec_b32 s37, s37
	s_waitcnt vmcnt(0)
	v_dual_mov_b32 v21, s34 :: v_dual_mov_b32 v22, s35
	s_xor_b32 exec_lo, exec_lo, s37
	s_cbranch_execz .LBB1_14
; %bb.12:                               ;   in Loop: Header=BB1_5 Depth=1
	v_cmp_eq_u64_e32 vcc_lo, 0, v[17:18]
	v_mov_b32_e32 v21, 0
	v_dual_mov_b32 v19, s24 :: v_dual_mov_b32 v20, s25
	v_mov_b32_e32 v22, 0xfff00000
	s_and_not1_b32 s34, s38, exec_lo
	s_and_b32 s35, vcc_lo, exec_lo
	s_delay_alu instid0(SALU_CYCLE_1)
	s_or_b32 s38, s34, s35
	s_or_b32 exec_lo, exec_lo, s37
	s_and_saveexec_b32 s34, s38
	s_cbranch_execnz .LBB1_15
.LBB1_13:                               ;   in Loop: Header=BB1_5 Depth=1
	s_or_b32 exec_lo, exec_lo, s34
	s_delay_alu instid0(SALU_CYCLE_1)
	s_mov_b32 s34, exec_lo
	v_cmpx_ge_i64_e64 s[10:11], v[17:18]
	s_cbranch_execz .LBB1_4
	s_branch .LBB1_16
.LBB1_14:                               ;   in Loop: Header=BB1_5 Depth=1
	s_or_b32 exec_lo, exec_lo, s37
	s_and_saveexec_b32 s34, s38
	s_cbranch_execz .LBB1_13
.LBB1_15:                               ;   in Loop: Header=BB1_5 Depth=1
	v_mul_lo_u32 v22, v20, s8
	v_mul_lo_u32 v25, v19, s9
	v_mad_u64_u32 v[20:21], null, v19, s8, 0
	s_delay_alu instid0(VALU_DEP_1) | instskip(NEXT) | instid1(VALU_DEP_1)
	v_add3_u32 v21, v21, v25, v22
	v_lshlrev_b64 v[19:20], 3, v[20:21]
	s_delay_alu instid0(VALU_DEP_1) | instskip(NEXT) | instid1(VALU_DEP_2)
	v_add_co_u32 v19, vcc_lo, v23, v19
	v_add_co_ci_u32_e32 v20, vcc_lo, v24, v20, vcc_lo
	global_load_b64 v[21:22], v[19:20], off
	s_or_b32 exec_lo, exec_lo, s34
	s_delay_alu instid0(SALU_CYCLE_1)
	s_mov_b32 s34, exec_lo
	v_cmpx_ge_i64_e64 s[10:11], v[17:18]
	s_cbranch_execz .LBB1_4
.LBB1_16:                               ;   in Loop: Header=BB1_5 Depth=1
	s_waitcnt vmcnt(0)
	global_store_b64 v[13:14], v[21:22], off
	s_branch .LBB1_4
.LBB1_17:
                                        ; implicit-def: $vgpr41
	s_cbranch_execnz .LBB1_19
	s_branch .LBB1_20
.LBB1_18:
	s_branch .LBB1_20
.LBB1_19:
	v_and_b32_e32 v41, 0x3ff, v0
.LBB1_20:
	v_cmp_lt_i64_e64 s2, 0, v[3:4]
	s_and_not1_b32 vcc_lo, exec_lo, s3
	s_cbranch_vccnz .LBB1_48
; %bb.21:
	s_load_b64 s[26:27], s[0:1], 0x18
	s_load_b32 s0, s[28:29], 0xc
	v_mad_u64_u32 v[13:14], null, s14, v41, 0
	v_add_co_u32 v0, vcc_lo, s30, v9
	v_add_co_ci_u32_e32 v42, vcc_lo, s31, v10, vcc_lo
	v_add_co_u32 v10, s1, v41, -2
	s_delay_alu instid0(VALU_DEP_4)
	v_mov_b32_e32 v11, v14
	v_add_co_ci_u32_e64 v19, null, 0, -1, s1
	s_lshl_b64 s[30:31], s[12:13], 3
	s_waitcnt vmcnt(0)
	v_mul_lo_u32 v21, s15, v10
	v_mad_u64_u32 v[17:18], null, s15, v41, v[11:12]
	v_mul_lo_u32 v22, s14, v19
	v_mad_u64_u32 v[19:20], null, s14, v10, 0
	v_lshlrev_b64 v[11:12], 1, v[3:4]
	s_waitcnt lgkmcnt(0)
	s_and_b32 s85, s0, 0xffff
	s_add_u32 s3, s20, s30
	s_delay_alu instid0(VALU_DEP_4)
	v_mov_b32_e32 v14, v17
	s_mul_i32 s1, s15, s85
	s_mul_hi_u32 s7, s14, s85
	s_addc_u32 s6, s21, s31
	s_mul_i32 s0, s14, s85
	s_add_i32 s1, s7, s1
	v_add3_u32 v20, v20, v22, v21
	s_lshl_b64 s[34:35], s[0:1], 3
	v_add_co_u32 v10, s0, v41, -1
	s_delay_alu instid0(VALU_DEP_1) | instskip(SKIP_1) | instid1(VALU_DEP_3)
	v_add_co_ci_u32_e64 v23, null, 0, -1, s0
	v_lshlrev_b64 v[17:18], 3, v[13:14]
	v_mul_lo_u32 v24, s15, v10
	v_mad_u64_u32 v[21:22], null, s14, v10, 0
	s_delay_alu instid0(VALU_DEP_4) | instskip(SKIP_1) | instid1(VALU_DEP_4)
	v_mul_lo_u32 v23, s14, v23
	s_lshl_b64 s[36:37], s[4:5], 3
	v_add_co_u32 v13, vcc_lo, s3, v17
	s_add_u32 s0, s22, s36
	v_add_co_ci_u32_e32 v14, vcc_lo, s6, v18, vcc_lo
	s_addc_u32 s1, s23, s37
	s_delay_alu instid0(VALU_DEP_3)
	v_add3_u32 v22, v22, v23, v24
	v_add_co_u32 v15, vcc_lo, s0, v15
	v_lshlrev_b64 v[19:20], 3, v[19:20]
	v_add_co_ci_u32_e32 v16, vcc_lo, s1, v16, vcc_lo
	v_add_co_u32 v17, vcc_lo, s20, v17
	v_lshlrev_b64 v[21:22], 3, v[21:22]
	v_add_co_ci_u32_e32 v18, vcc_lo, s21, v18, vcc_lo
	v_add_co_u32 v19, vcc_lo, s20, v19
	v_add_co_ci_u32_e32 v20, vcc_lo, s21, v20, vcc_lo
	s_delay_alu instid0(VALU_DEP_4)
	v_add_co_u32 v21, vcc_lo, s20, v21
	v_cmp_gt_i64_e64 s84, s[26:27], 1
	v_mov_b32_e32 v9, 0
	v_add_co_ci_u32_e32 v22, vcc_lo, s21, v22, vcc_lo
	s_mov_b32 s22, 0x652b82fe
	s_mov_b32 s38, 0xfefa39ef
	;; [unrolled: 1-line block ×20, first 2 shown]
	s_mov_b64 s[28:29], 0
	s_lshl_b64 s[8:9], s[8:9], 3
	s_mov_b32 s23, 0x3ff71547
	s_mov_b32 s39, 0xbfe62e42
	s_mov_b32 s41, 0xbc7abc9e
	s_mov_b32 s43, 0x3e928af3
	s_mov_b32 s45, 0x3e5ade15
	s_mov_b32 s47, 0x3ec71dee
	s_mov_b32 s49, 0x3efa0199
	s_mov_b32 s51, 0x3f2a01a0
	s_mov_b32 s53, 0x3f56c16c
	s_mov_b32 s55, 0x3f811111
	s_mov_b32 s57, 0x3fa55555
	s_mov_b32 s59, 0x3fc55555
	s_mov_b32 s61, 0x3fe00000
	s_mov_b32 s63, 0x3fe55555
	s_mov_b32 s65, 0x3fc38538
	s_mov_b32 s67, 0x3fc3ab76
	s_mov_b32 s69, 0x3fc7474d
	s_mov_b32 s71, 0x3fcc71c0
	s_mov_b32 s73, 0x3fd24924
	s_mov_b32 s75, 0x3fd99999
	s_mov_b32 s76, 0x55555780
	s_mov_b32 s79, 0x3fe62e42
	s_mov_b32 s81, 0x3c7abc9e
	s_branch .LBB1_23
.LBB1_22:                               ;   in Loop: Header=BB1_23 Depth=1
	v_add_co_u32 v13, vcc_lo, v13, s34
	v_add_co_ci_u32_e32 v14, vcc_lo, s35, v14, vcc_lo
	v_add_co_u32 v17, vcc_lo, v17, s34
	s_add_u32 s28, s28, s85
	v_add_co_ci_u32_e32 v18, vcc_lo, s35, v18, vcc_lo
	s_addc_u32 s29, s29, 0
	v_add_co_u32 v19, vcc_lo, v19, s34
	v_cmp_gt_i64_e64 s0, s[28:29], s[10:11]
	v_add_co_ci_u32_e32 v20, vcc_lo, s35, v20, vcc_lo
	v_add_co_u32 v21, vcc_lo, v21, s34
	v_add_co_ci_u32_e32 v22, vcc_lo, s35, v22, vcc_lo
	s_delay_alu instid0(VALU_DEP_4)
	s_and_b32 vcc_lo, exec_lo, s0
	s_cbranch_vccnz .LBB1_48
.LBB1_23:                               ; =>This Loop Header: Depth=1
                                        ;     Child Loop BB1_34 Depth 2
	v_add_co_u32 v25, s0, s28, v41
	s_delay_alu instid0(VALU_DEP_1) | instskip(SKIP_2) | instid1(VALU_DEP_2)
	v_add_co_ci_u32_e64 v26, null, s29, 0, s0
	v_dual_mov_b32 v28, s25 :: v_dual_mov_b32 v27, s24
	s_mov_b32 s86, 0
	v_cmp_le_i64_e64 s1, v[25:26], v[11:12]
	s_delay_alu instid0(VALU_DEP_1) | instskip(NEXT) | instid1(SALU_CYCLE_1)
	s_and_b32 s0, s2, s1
	s_and_saveexec_b32 s3, s0
	s_cbranch_execz .LBB1_31
; %bb.24:                               ;   in Loop: Header=BB1_23 Depth=1
	v_and_b32_e32 v10, 1, v25
	v_dual_mov_b32 v28, s25 :: v_dual_mov_b32 v27, s24
	s_delay_alu instid0(VALU_DEP_2)
	v_cmp_eq_u32_e32 vcc_lo, 1, v10
	s_and_saveexec_b32 s4, vcc_lo
	s_cbranch_execz .LBB1_26
; %bb.25:                               ;   in Loop: Header=BB1_23 Depth=1
	v_alignbit_b32 v10, v26, v25, 1
	v_lshrrev_b32_e32 v27, 1, v26
	s_delay_alu instid0(VALU_DEP_2) | instskip(SKIP_1) | instid1(VALU_DEP_3)
	v_mul_lo_u32 v28, v10, s17
	v_mad_u64_u32 v[23:24], null, v10, s16, 0
	v_mul_lo_u32 v10, v27, s16
	s_delay_alu instid0(VALU_DEP_1) | instskip(NEXT) | instid1(VALU_DEP_1)
	v_add3_u32 v24, v24, v28, v10
	v_lshlrev_b64 v[23:24], 2, v[23:24]
	s_delay_alu instid0(VALU_DEP_1) | instskip(NEXT) | instid1(VALU_DEP_1)
	v_add_co_u32 v23, s0, v0, v23
	v_add_co_ci_u32_e64 v24, s0, v42, v24, s0
	global_load_b32 v27, v[23:24], off
	s_waitcnt vmcnt(0)
	v_ashrrev_i32_e32 v28, 31, v27
.LBB1_26:                               ;   in Loop: Header=BB1_23 Depth=1
	s_or_b32 exec_lo, exec_lo, s4
	s_mov_b32 s5, 0
	s_mov_b32 s4, exec_lo
	v_cmpx_lt_u64_e32 1, v[25:26]
	s_cbranch_execz .LBB1_30
; %bb.27:                               ;   in Loop: Header=BB1_23 Depth=1
	v_dual_mov_b32 v23, s24 :: v_dual_mov_b32 v24, s25
	s_and_saveexec_b32 s0, vcc_lo
	s_cbranch_execz .LBB1_29
; %bb.28:                               ;   in Loop: Header=BB1_23 Depth=1
	v_add_co_u32 v10, vcc_lo, v25, -2
	v_add_co_ci_u32_e32 v24, vcc_lo, -1, v26, vcc_lo
	s_delay_alu instid0(VALU_DEP_1) | instskip(NEXT) | instid1(VALU_DEP_1)
	v_lshrrev_b32_e32 v23, 31, v24
	v_add_co_u32 v23, vcc_lo, v10, v23
	v_add_co_ci_u32_e32 v24, vcc_lo, 0, v24, vcc_lo
	s_delay_alu instid0(VALU_DEP_1) | instskip(NEXT) | instid1(VALU_DEP_1)
	v_ashrrev_i64 v[23:24], 1, v[23:24]
	v_mul_lo_u32 v10, v24, s16
	s_delay_alu instid0(VALU_DEP_2) | instskip(SKIP_1) | instid1(VALU_DEP_1)
	v_mul_lo_u32 v24, v23, s17
	v_mad_u64_u32 v[29:30], null, v23, s16, 0
	v_add3_u32 v30, v30, v24, v10
	s_delay_alu instid0(VALU_DEP_1) | instskip(NEXT) | instid1(VALU_DEP_1)
	v_lshlrev_b64 v[23:24], 2, v[29:30]
	v_add_co_u32 v23, vcc_lo, v0, v23
	s_delay_alu instid0(VALU_DEP_2)
	v_add_co_ci_u32_e32 v24, vcc_lo, v42, v24, vcc_lo
	global_load_b32 v23, v[23:24], off
	s_waitcnt vmcnt(0)
	v_ashrrev_i32_e32 v24, 31, v23
.LBB1_29:                               ;   in Loop: Header=BB1_23 Depth=1
	s_or_b32 exec_lo, exec_lo, s0
	s_delay_alu instid0(VALU_DEP_1)
	v_cmp_ne_u64_e32 vcc_lo, v[23:24], v[27:28]
	s_and_b32 s5, vcc_lo, exec_lo
.LBB1_30:                               ;   in Loop: Header=BB1_23 Depth=1
	s_or_b32 exec_lo, exec_lo, s4
	s_delay_alu instid0(SALU_CYCLE_1)
	s_and_b32 s86, s5, exec_lo
.LBB1_31:                               ;   in Loop: Header=BB1_23 Depth=1
	s_or_b32 exec_lo, exec_lo, s3
	s_delay_alu instid0(SALU_CYCLE_1)
	s_and_not1_b32 vcc_lo, exec_lo, s84
	s_cbranch_vccnz .LBB1_22
; %bb.32:                               ;   in Loop: Header=BB1_23 Depth=1
	v_mad_u64_u32 v[23:24], null, s8, v27, v[15:16]
	v_mul_lo_u32 v10, s8, v28
	v_mul_lo_u32 v29, s9, v27
	v_cmp_ge_i64_e32 vcc_lo, s[10:11], v[25:26]
	v_cmp_ne_u64_e64 s0, 0, v[25:26]
	v_dual_mov_b32 v26, v22 :: v_dual_mov_b32 v25, v21
	v_dual_mov_b32 v28, v20 :: v_dual_mov_b32 v27, v19
	;; [unrolled: 1-line block ×3, first 2 shown]
	v_add3_u32 v24, v29, v24, v10
	v_dual_mov_b32 v30, v18 :: v_dual_mov_b32 v29, v17
	s_mov_b64 s[82:83], 1
	s_xor_b32 s87, s1, -1
	s_branch .LBB1_34
.LBB1_33:                               ;   in Loop: Header=BB1_34 Depth=2
	s_or_b32 exec_lo, exec_lo, s3
	v_add_co_u32 v31, s1, v31, s30
	s_delay_alu instid0(VALU_DEP_1) | instskip(SKIP_1) | instid1(VALU_DEP_1)
	v_add_co_ci_u32_e64 v32, s1, s31, v32, s1
	v_add_co_u32 v23, s1, v23, s36
	v_add_co_ci_u32_e64 v24, s1, s37, v24, s1
	v_add_co_u32 v29, s1, v29, s30
	s_delay_alu instid0(VALU_DEP_1) | instskip(SKIP_1) | instid1(VALU_DEP_1)
	v_add_co_ci_u32_e64 v30, s1, s31, v30, s1
	v_add_co_u32 v27, s1, v27, s30
	v_add_co_ci_u32_e64 v28, s1, s31, v28, s1
	v_add_co_u32 v25, s1, v25, s30
	s_add_u32 s82, s82, 1
	v_add_co_ci_u32_e64 v26, s1, s31, v26, s1
	s_addc_u32 s83, s83, 0
	s_delay_alu instid0(SALU_CYCLE_1)
	s_cmp_eq_u64 s[26:27], s[82:83]
	s_cbranch_scc1 .LBB1_22
.LBB1_34:                               ;   Parent Loop BB1_23 Depth=1
                                        ; =>  This Inner Loop Header: Depth=2
	v_cmp_ge_i64_e64 s1, s[82:83], v[5:6]
	s_mov_b32 s88, 0
	s_waitcnt_vscnt null, 0x0
	s_barrier
	buffer_gl0_inv
                                        ; implicit-def: $sgpr4_sgpr5
	s_or_b32 s1, s87, s1
	s_delay_alu instid0(SALU_CYCLE_1) | instskip(NEXT) | instid1(SALU_CYCLE_1)
	s_and_saveexec_b32 s3, s1
	s_xor_b32 s1, exec_lo, s3
; %bb.35:                               ;   in Loop: Header=BB1_34 Depth=2
	s_mov_b32 s4, 0
	s_mov_b32 s5, 0xfff00000
	s_and_b32 s88, vcc_lo, exec_lo
; %bb.36:                               ;   in Loop: Header=BB1_34 Depth=2
	s_or_saveexec_b32 s89, s1
	v_dual_mov_b32 v34, s5 :: v_dual_mov_b32 v33, s4
	s_xor_b32 exec_lo, exec_lo, s89
	s_cbranch_execz .LBB1_46
; %bb.37:                               ;   in Loop: Header=BB1_34 Depth=2
	v_add_co_u32 v33, s1, v29, v7
	s_delay_alu instid0(VALU_DEP_1)
	v_add_co_ci_u32_e64 v34, s1, v30, v8, s1
	global_load_b64 v[37:38], v[33:34], off
	v_mov_b32_e32 v33, 0
	v_mov_b32_e32 v34, 0xfff00000
	s_waitcnt vmcnt(0)
	v_dual_mov_b32 v40, v38 :: v_dual_mov_b32 v39, v37
	s_delay_alu instid0(VALU_DEP_2)
	v_dual_mov_b32 v36, v34 :: v_dual_mov_b32 v35, v33
	s_and_saveexec_b32 s3, s0
	s_cbranch_execz .LBB1_41
; %bb.38:                               ;   in Loop: Header=BB1_34 Depth=2
	v_add_co_u32 v35, s1, v25, v7
	s_delay_alu instid0(VALU_DEP_1)
	v_add_co_ci_u32_e64 v36, s1, v26, v8, s1
	v_dual_mov_b32 v40, v38 :: v_dual_mov_b32 v39, v37
	s_mov_b32 s4, exec_lo
	global_load_b64 v[35:36], v[35:36], off
	s_waitcnt vmcnt(0)
	v_cmpx_gt_f64_e32 v[35:36], v[37:38]
; %bb.39:                               ;   in Loop: Header=BB1_34 Depth=2
	v_dual_mov_b32 v40, v36 :: v_dual_mov_b32 v39, v35
; %bb.40:                               ;   in Loop: Header=BB1_34 Depth=2
	s_or_b32 exec_lo, exec_lo, s4
.LBB1_41:                               ;   in Loop: Header=BB1_34 Depth=2
	s_delay_alu instid0(SALU_CYCLE_1)
	s_or_b32 exec_lo, exec_lo, s3
	s_and_saveexec_b32 s3, s86
	s_cbranch_execz .LBB1_45
; %bb.42:                               ;   in Loop: Header=BB1_34 Depth=2
	v_add_co_u32 v33, s1, v27, v7
	s_delay_alu instid0(VALU_DEP_1)
	v_add_co_ci_u32_e64 v34, s1, v28, v8, s1
	s_mov_b32 s4, exec_lo
	global_load_b64 v[33:34], v[33:34], off
	s_waitcnt vmcnt(0)
	v_cmpx_gt_f64_e32 v[33:34], v[39:40]
; %bb.43:                               ;   in Loop: Header=BB1_34 Depth=2
	v_dual_mov_b32 v40, v34 :: v_dual_mov_b32 v39, v33
; %bb.44:                               ;   in Loop: Header=BB1_34 Depth=2
	s_or_b32 exec_lo, exec_lo, s4
.LBB1_45:                               ;   in Loop: Header=BB1_34 Depth=2
	s_delay_alu instid0(SALU_CYCLE_1) | instskip(NEXT) | instid1(VALU_DEP_1)
	s_or_b32 exec_lo, exec_lo, s3
	v_cmp_neq_f64_e64 s1, 0xfff00000, v[39:40]
	s_mov_b32 s77, s63
	s_mov_b32 s78, s38
	;; [unrolled: 1-line block ×3, first 2 shown]
	s_or_b32 s88, s88, exec_lo
	s_delay_alu instid0(VALU_DEP_1) | instskip(SKIP_1) | instid1(VALU_DEP_1)
	v_cndmask_b32_e64 v40, 0, v40, s1
	v_cndmask_b32_e64 v39, 0, v39, s1
	v_add_f64 v[37:38], v[37:38], -v[39:40]
	v_add_f64 v[35:36], v[35:36], -v[39:40]
	;; [unrolled: 1-line block ×3, first 2 shown]
	s_delay_alu instid0(VALU_DEP_3) | instskip(NEXT) | instid1(VALU_DEP_3)
	v_mul_f64 v[43:44], v[37:38], s[22:23]
	v_mul_f64 v[45:46], v[35:36], s[22:23]
	s_delay_alu instid0(VALU_DEP_3)
	v_mul_f64 v[47:48], v[33:34], s[22:23]
	v_cmp_nlt_f64_e64 s1, 0x40900000, v[37:38]
	v_cmp_nlt_f64_e64 s4, 0x40900000, v[35:36]
	v_cmp_ngt_f64_e64 s3, 0xc090cc00, v[37:38]
	v_cmp_ngt_f64_e64 s5, 0xc090cc00, v[35:36]
	v_cmp_nlt_f64_e64 s6, 0x40900000, v[33:34]
	v_cmp_ngt_f64_e64 s7, 0xc090cc00, v[33:34]
	v_rndne_f64_e32 v[43:44], v[43:44]
	v_rndne_f64_e32 v[45:46], v[45:46]
	;; [unrolled: 1-line block ×3, first 2 shown]
	s_delay_alu instid0(VALU_DEP_3) | instskip(NEXT) | instid1(VALU_DEP_3)
	v_fma_f64 v[49:50], v[43:44], s[38:39], v[37:38]
	v_fma_f64 v[51:52], v[45:46], s[38:39], v[35:36]
	s_delay_alu instid0(VALU_DEP_3) | instskip(SKIP_1) | instid1(VALU_DEP_4)
	v_fma_f64 v[53:54], v[47:48], s[38:39], v[33:34]
	v_cvt_i32_f64_e32 v10, v[43:44]
	v_fma_f64 v[49:50], v[43:44], s[40:41], v[49:50]
	s_delay_alu instid0(VALU_DEP_4) | instskip(NEXT) | instid1(VALU_DEP_4)
	v_fma_f64 v[51:52], v[45:46], s[40:41], v[51:52]
	v_fma_f64 v[53:54], v[47:48], s[40:41], v[53:54]
	s_delay_alu instid0(VALU_DEP_3) | instskip(NEXT) | instid1(VALU_DEP_3)
	v_fma_f64 v[55:56], v[49:50], s[44:45], s[42:43]
	v_fma_f64 v[57:58], v[51:52], s[44:45], s[42:43]
	s_delay_alu instid0(VALU_DEP_3) | instskip(NEXT) | instid1(VALU_DEP_3)
	;; [unrolled: 3-line block ×14, first 2 shown]
	v_fma_f64 v[59:60], v[53:54], v[59:60], s[60:61]
	v_fma_f64 v[55:56], v[49:50], v[55:56], 1.0
	s_delay_alu instid0(VALU_DEP_3) | instskip(NEXT) | instid1(VALU_DEP_3)
	v_fma_f64 v[57:58], v[51:52], v[57:58], 1.0
	v_fma_f64 v[59:60], v[53:54], v[59:60], 1.0
	s_delay_alu instid0(VALU_DEP_3) | instskip(SKIP_1) | instid1(VALU_DEP_4)
	v_fma_f64 v[43:44], v[49:50], v[55:56], 1.0
	v_cvt_i32_f64_e32 v49, v[45:46]
	v_fma_f64 v[45:46], v[51:52], v[57:58], 1.0
	v_cvt_i32_f64_e32 v50, v[47:48]
	v_fma_f64 v[47:48], v[53:54], v[59:60], 1.0
	v_ldexp_f64 v[43:44], v[43:44], v10
	s_delay_alu instid0(VALU_DEP_4) | instskip(NEXT) | instid1(VALU_DEP_3)
	v_ldexp_f64 v[45:46], v[45:46], v49
	v_ldexp_f64 v[47:48], v[47:48], v50
	s_delay_alu instid0(VALU_DEP_3) | instskip(SKIP_1) | instid1(VALU_DEP_3)
	v_cndmask_b32_e64 v10, 0x7ff00000, v44, s1
	s_and_b32 s1, s3, s1
	v_cndmask_b32_e64 v37, 0x7ff00000, v46, s4
	v_cndmask_b32_e64 v33, 0, v43, s1
	s_and_b32 s1, s5, s4
	v_cndmask_b32_e64 v34, 0, v10, s3
	v_cndmask_b32_e64 v35, 0, v45, s1
	v_cndmask_b32_e64 v36, 0, v37, s5
	v_cndmask_b32_e64 v38, 0x7ff00000, v48, s6
	s_and_b32 s1, s7, s6
	s_delay_alu instid0(VALU_DEP_2) | instskip(NEXT) | instid1(VALU_DEP_2)
	v_add_f64 v[33:34], v[33:34], v[35:36]
	v_cndmask_b32_e64 v36, 0, v38, s7
	v_cndmask_b32_e64 v35, 0, v47, s1
	s_delay_alu instid0(VALU_DEP_1) | instskip(NEXT) | instid1(VALU_DEP_1)
	v_add_f64 v[33:34], v[35:36], v[33:34]
	v_frexp_mant_f64_e32 v[35:36], v[33:34]
	s_delay_alu instid0(VALU_DEP_1) | instskip(NEXT) | instid1(VALU_DEP_1)
	v_cmp_gt_f64_e64 s1, s[62:63], v[35:36]
	v_cndmask_b32_e64 v10, 0x3ff00000, 2.0, s1
	s_delay_alu instid0(VALU_DEP_1) | instskip(SKIP_1) | instid1(VALU_DEP_2)
	v_mul_f64 v[35:36], v[35:36], v[9:10]
	v_frexp_exp_i32_f64_e32 v10, v[33:34]
	v_add_f64 v[37:38], v[35:36], 1.0
	v_add_f64 v[47:48], v[35:36], -1.0
	s_delay_alu instid0(VALU_DEP_3) | instskip(SKIP_1) | instid1(VALU_DEP_4)
	v_subrev_co_ci_u32_e64 v10, s1, 0, v10, s1
	v_cmp_class_f64_e64 s1, v[33:34], 0x204
	v_rcp_f64_e32 v[43:44], v[37:38]
	v_add_f64 v[49:50], v[37:38], -1.0
	s_delay_alu instid0(VALU_DEP_1) | instskip(SKIP_2) | instid1(VALU_DEP_1)
	v_add_f64 v[35:36], v[35:36], -v[49:50]
	s_waitcnt_depctr 0xfff
	v_fma_f64 v[45:46], -v[37:38], v[43:44], 1.0
	v_fma_f64 v[43:44], v[45:46], v[43:44], v[43:44]
	s_delay_alu instid0(VALU_DEP_1) | instskip(NEXT) | instid1(VALU_DEP_1)
	v_fma_f64 v[45:46], -v[37:38], v[43:44], 1.0
	v_fma_f64 v[43:44], v[45:46], v[43:44], v[43:44]
	s_delay_alu instid0(VALU_DEP_1) | instskip(NEXT) | instid1(VALU_DEP_1)
	v_mul_f64 v[45:46], v[47:48], v[43:44]
	v_mul_f64 v[51:52], v[37:38], v[45:46]
	s_delay_alu instid0(VALU_DEP_1) | instskip(NEXT) | instid1(VALU_DEP_1)
	v_fma_f64 v[37:38], v[45:46], v[37:38], -v[51:52]
	v_fma_f64 v[35:36], v[45:46], v[35:36], v[37:38]
	s_delay_alu instid0(VALU_DEP_1) | instskip(NEXT) | instid1(VALU_DEP_1)
	v_add_f64 v[37:38], v[51:52], v[35:36]
	v_add_f64 v[49:50], v[47:48], -v[37:38]
	v_add_f64 v[51:52], v[37:38], -v[51:52]
	s_delay_alu instid0(VALU_DEP_2) | instskip(NEXT) | instid1(VALU_DEP_2)
	v_add_f64 v[47:48], v[47:48], -v[49:50]
	v_add_f64 v[35:36], v[51:52], -v[35:36]
	s_delay_alu instid0(VALU_DEP_2) | instskip(NEXT) | instid1(VALU_DEP_1)
	v_add_f64 v[37:38], v[47:48], -v[37:38]
	v_add_f64 v[35:36], v[35:36], v[37:38]
	s_delay_alu instid0(VALU_DEP_1) | instskip(NEXT) | instid1(VALU_DEP_1)
	v_add_f64 v[35:36], v[49:50], v[35:36]
	v_mul_f64 v[35:36], v[43:44], v[35:36]
	s_delay_alu instid0(VALU_DEP_1) | instskip(NEXT) | instid1(VALU_DEP_1)
	v_add_f64 v[37:38], v[45:46], v[35:36]
	v_mul_f64 v[43:44], v[37:38], v[37:38]
	s_delay_alu instid0(VALU_DEP_1) | instskip(SKIP_1) | instid1(VALU_DEP_2)
	v_fma_f64 v[47:48], v[43:44], s[66:67], s[64:65]
	v_mul_f64 v[49:50], v[37:38], v[43:44]
	v_fma_f64 v[47:48], v[43:44], v[47:48], s[68:69]
	s_delay_alu instid0(VALU_DEP_1) | instskip(NEXT) | instid1(VALU_DEP_1)
	v_fma_f64 v[47:48], v[43:44], v[47:48], s[70:71]
	v_fma_f64 v[47:48], v[43:44], v[47:48], s[72:73]
	s_delay_alu instid0(VALU_DEP_1) | instskip(NEXT) | instid1(VALU_DEP_1)
	v_fma_f64 v[47:48], v[43:44], v[47:48], s[74:75]
	v_fma_f64 v[43:44], v[43:44], v[47:48], s[76:77]
	v_ldexp_f64 v[47:48], v[37:38], 1
	v_add_f64 v[37:38], v[37:38], -v[45:46]
	s_delay_alu instid0(VALU_DEP_3) | instskip(SKIP_1) | instid1(VALU_DEP_3)
	v_mul_f64 v[43:44], v[49:50], v[43:44]
	v_cvt_f64_i32_e32 v[49:50], v10
	v_add_f64 v[35:36], v[35:36], -v[37:38]
	s_delay_alu instid0(VALU_DEP_3) | instskip(NEXT) | instid1(VALU_DEP_3)
	v_add_f64 v[45:46], v[47:48], v[43:44]
	v_mul_f64 v[51:52], v[49:50], s[78:79]
	s_delay_alu instid0(VALU_DEP_3) | instskip(NEXT) | instid1(VALU_DEP_3)
	v_ldexp_f64 v[35:36], v[35:36], 1
	v_add_f64 v[37:38], v[45:46], -v[47:48]
	s_delay_alu instid0(VALU_DEP_3) | instskip(NEXT) | instid1(VALU_DEP_2)
	v_fma_f64 v[47:48], v[49:50], s[78:79], -v[51:52]
	v_add_f64 v[37:38], v[43:44], -v[37:38]
	s_delay_alu instid0(VALU_DEP_2) | instskip(NEXT) | instid1(VALU_DEP_2)
	v_fma_f64 v[43:44], v[49:50], s[80:81], v[47:48]
	v_add_f64 v[35:36], v[35:36], v[37:38]
	s_delay_alu instid0(VALU_DEP_2) | instskip(NEXT) | instid1(VALU_DEP_2)
	v_add_f64 v[37:38], v[51:52], v[43:44]
	v_add_f64 v[47:48], v[45:46], v[35:36]
	s_delay_alu instid0(VALU_DEP_2) | instskip(NEXT) | instid1(VALU_DEP_2)
	v_add_f64 v[51:52], v[37:38], -v[51:52]
	v_add_f64 v[49:50], v[37:38], v[47:48]
	v_add_f64 v[45:46], v[47:48], -v[45:46]
	s_delay_alu instid0(VALU_DEP_3) | instskip(NEXT) | instid1(VALU_DEP_3)
	v_add_f64 v[43:44], v[43:44], -v[51:52]
	v_add_f64 v[53:54], v[49:50], -v[37:38]
	s_delay_alu instid0(VALU_DEP_3) | instskip(NEXT) | instid1(VALU_DEP_2)
	v_add_f64 v[35:36], v[35:36], -v[45:46]
	v_add_f64 v[55:56], v[49:50], -v[53:54]
	;; [unrolled: 1-line block ×3, first 2 shown]
	s_delay_alu instid0(VALU_DEP_3) | instskip(SKIP_2) | instid1(VALU_DEP_1)
	v_add_f64 v[51:52], v[43:44], v[35:36]
	global_load_b64 v[47:48], v[23:24], off
	v_add_f64 v[37:38], v[37:38], -v[55:56]
	v_add_f64 v[37:38], v[45:46], v[37:38]
	v_add_f64 v[45:46], v[51:52], -v[43:44]
	s_delay_alu instid0(VALU_DEP_2) | instskip(NEXT) | instid1(VALU_DEP_2)
	v_add_f64 v[37:38], v[51:52], v[37:38]
	v_add_f64 v[51:52], v[51:52], -v[45:46]
	v_add_f64 v[35:36], v[35:36], -v[45:46]
	s_delay_alu instid0(VALU_DEP_3) | instskip(NEXT) | instid1(VALU_DEP_3)
	v_add_f64 v[53:54], v[49:50], v[37:38]
	v_add_f64 v[43:44], v[43:44], -v[51:52]
	s_delay_alu instid0(VALU_DEP_2) | instskip(NEXT) | instid1(VALU_DEP_2)
	v_add_f64 v[45:46], v[53:54], -v[49:50]
	v_add_f64 v[35:36], v[35:36], v[43:44]
	s_delay_alu instid0(VALU_DEP_2) | instskip(NEXT) | instid1(VALU_DEP_1)
	v_add_f64 v[37:38], v[37:38], -v[45:46]
	v_add_f64 v[35:36], v[35:36], v[37:38]
	s_delay_alu instid0(VALU_DEP_1) | instskip(NEXT) | instid1(VALU_DEP_1)
	v_add_f64 v[35:36], v[53:54], v[35:36]
	v_cndmask_b32_e64 v10, v35, v33, s1
	s_delay_alu instid0(VALU_DEP_2) | instskip(SKIP_1) | instid1(VALU_DEP_1)
	v_cndmask_b32_e64 v35, v36, v34, s1
	v_cmp_ngt_f64_e64 s1, 0, v[33:34]
	v_cndmask_b32_e64 v36, 0x7ff80000, v35, s1
	v_cmp_nge_f64_e64 s1, 0, v[33:34]
	s_delay_alu instid0(VALU_DEP_1) | instskip(SKIP_1) | instid1(VALU_DEP_1)
	v_cndmask_b32_e64 v35, 0, v10, s1
	v_cmp_neq_f64_e64 s1, 0, v[33:34]
	v_cndmask_b32_e64 v36, 0xfff00000, v36, s1
	s_delay_alu instid0(VALU_DEP_1) | instskip(SKIP_1) | instid1(VALU_DEP_1)
	v_add_f64 v[33:34], v[39:40], v[35:36]
	s_waitcnt vmcnt(0)
	v_add_f64 v[33:34], v[47:48], v[33:34]
.LBB1_46:                               ;   in Loop: Header=BB1_34 Depth=2
	s_or_b32 exec_lo, exec_lo, s89
	s_and_saveexec_b32 s3, s88
	s_cbranch_execz .LBB1_33
; %bb.47:                               ;   in Loop: Header=BB1_34 Depth=2
	v_add_co_u32 v35, s1, v31, v7
	s_delay_alu instid0(VALU_DEP_1)
	v_add_co_ci_u32_e64 v36, s1, v32, v8, s1
	global_store_b64 v[35:36], v[33:34], off
	s_branch .LBB1_33
.LBB1_48:
	s_mov_b32 s3, exec_lo
	s_waitcnt vmcnt(0)
	s_waitcnt_vscnt null, 0x0
	s_barrier
	buffer_gl0_inv
	v_cmpx_eq_u32_e32 0, v41
	s_cbranch_execz .LBB1_52
; %bb.49:
	v_add_co_u32 v0, vcc_lo, v5, -1
	v_add_co_ci_u32_e32 v5, vcc_lo, -1, v6, vcc_lo
	v_mul_lo_u32 v13, v3, s15
	s_delay_alu instid0(VALU_DEP_3) | instskip(SKIP_1) | instid1(VALU_DEP_4)
	v_mul_lo_u32 v12, v0, s13
	v_mad_u64_u32 v[9:10], null, v3, s14, 0
	v_mul_lo_u32 v11, v5, s12
	v_mad_u64_u32 v[5:6], null, v0, s12, 0
	v_mul_lo_u32 v0, v4, s14
	s_delay_alu instid0(VALU_DEP_2) | instskip(NEXT) | instid1(VALU_DEP_2)
	v_add3_u32 v6, v6, v12, v11
	v_add3_u32 v10, v10, v13, v0
	v_add_co_u32 v0, vcc_lo, s20, v7
	s_delay_alu instid0(VALU_DEP_3) | instskip(SKIP_1) | instid1(VALU_DEP_4)
	v_lshlrev_b64 v[5:6], 3, v[5:6]
	v_add_co_ci_u32_e32 v7, vcc_lo, s21, v8, vcc_lo
	v_lshlrev_b64 v[11:12], 4, v[9:10]
	s_delay_alu instid0(VALU_DEP_3) | instskip(NEXT) | instid1(VALU_DEP_3)
	v_add_co_u32 v0, vcc_lo, v0, v5
	v_add_co_ci_u32_e32 v7, vcc_lo, v7, v6, vcc_lo
	s_delay_alu instid0(VALU_DEP_2) | instskip(NEXT) | instid1(VALU_DEP_2)
	v_add_co_u32 v5, vcc_lo, v0, v11
	v_add_co_ci_u32_e32 v6, vcc_lo, v7, v12, vcc_lo
	v_cmp_lt_i64_e32 vcc_lo, 0, v[3:4]
	v_mov_b32_e32 v3, 0
	v_mov_b32_e32 v4, 0xfff00000
	global_load_b64 v[5:6], v[5:6], off
	s_and_saveexec_b32 s0, vcc_lo
	s_cbranch_execz .LBB1_51
; %bb.50:
	v_lshlrev_b64 v[3:4], 1, v[9:10]
	s_delay_alu instid0(VALU_DEP_1) | instskip(NEXT) | instid1(VALU_DEP_2)
	v_sub_co_u32 v3, vcc_lo, v3, s14
	v_subrev_co_ci_u32_e32 v4, vcc_lo, s15, v4, vcc_lo
	s_delay_alu instid0(VALU_DEP_1) | instskip(NEXT) | instid1(VALU_DEP_1)
	v_lshlrev_b64 v[3:4], 3, v[3:4]
	v_add_co_u32 v3, vcc_lo, v0, v3
	s_delay_alu instid0(VALU_DEP_2)
	v_add_co_ci_u32_e32 v4, vcc_lo, v7, v4, vcc_lo
	global_load_b64 v[3:4], v[3:4], off
.LBB1_51:
	s_or_b32 exec_lo, exec_lo, s0
	s_waitcnt vmcnt(0)
	v_cmp_gt_f64_e32 vcc_lo, v[5:6], v[3:4]
	s_mov_b32 s0, 0x652b82fe
	s_mov_b32 s1, 0x3ff71547
	;; [unrolled: 1-line block ×10, first 2 shown]
	v_dual_cndmask_b32 v8, v4, v6 :: v_dual_cndmask_b32 v7, v3, v5
	s_delay_alu instid0(VALU_DEP_1) | instskip(SKIP_1) | instid1(VALU_DEP_1)
	v_cmp_neq_f64_e32 vcc_lo, 0xfff00000, v[7:8]
	v_dual_cndmask_b32 v8, 0, v8 :: v_dual_cndmask_b32 v7, 0, v7
	v_add_f64 v[5:6], v[5:6], -v[7:8]
	v_add_f64 v[3:4], v[3:4], -v[7:8]
	s_delay_alu instid0(VALU_DEP_2) | instskip(NEXT) | instid1(VALU_DEP_2)
	v_mul_f64 v[9:10], v[5:6], s[0:1]
	v_mul_f64 v[11:12], v[3:4], s[0:1]
	s_mov_b32 s0, 0xfca7ab0c
	s_mov_b32 s1, 0x3e928af3
	v_cmp_nlt_f64_e32 vcc_lo, 0x40900000, v[5:6]
	v_cmp_ngt_f64_e64 s2, 0xc090cc00, v[3:4]
	s_delay_alu instid0(VALU_DEP_4) | instskip(NEXT) | instid1(VALU_DEP_4)
	v_rndne_f64_e32 v[9:10], v[9:10]
	v_rndne_f64_e32 v[11:12], v[11:12]
	s_delay_alu instid0(VALU_DEP_2) | instskip(NEXT) | instid1(VALU_DEP_2)
	v_fma_f64 v[13:14], v[9:10], s[6:7], v[5:6]
	v_fma_f64 v[15:16], v[11:12], s[6:7], v[3:4]
	v_cvt_i32_f64_e32 v0, v[9:10]
	s_mov_b32 s7, 0x3fe62e42
	s_delay_alu instid0(VALU_DEP_3) | instskip(NEXT) | instid1(VALU_DEP_3)
	v_fma_f64 v[13:14], v[9:10], s[4:5], v[13:14]
	v_fma_f64 v[15:16], v[11:12], s[4:5], v[15:16]
	s_mov_b32 s5, 0x3c7abc9e
	s_delay_alu instid0(VALU_DEP_2) | instskip(NEXT) | instid1(VALU_DEP_2)
	v_fma_f64 v[17:18], v[13:14], s[8:9], s[0:1]
	v_fma_f64 v[19:20], v[15:16], s[8:9], s[0:1]
	s_mov_b32 s0, 0x623fde64
	s_mov_b32 s1, 0x3ec71dee
	;; [unrolled: 1-line block ×4, first 2 shown]
	s_delay_alu instid0(VALU_DEP_2) | instskip(NEXT) | instid1(VALU_DEP_2)
	v_fma_f64 v[17:18], v[13:14], v[17:18], s[0:1]
	v_fma_f64 v[19:20], v[15:16], v[19:20], s[0:1]
	s_mov_b32 s0, 0x7c89e6b0
	s_mov_b32 s1, 0x3efa0199
	s_delay_alu instid0(VALU_DEP_2) | instid1(SALU_CYCLE_1)
	v_fma_f64 v[17:18], v[13:14], v[17:18], s[0:1]
	s_delay_alu instid0(VALU_DEP_2)
	v_fma_f64 v[19:20], v[15:16], v[19:20], s[0:1]
	s_mov_b32 s0, 0x14761f6e
	s_mov_b32 s1, 0x3f2a01a0
	s_delay_alu instid0(VALU_DEP_2) | instid1(SALU_CYCLE_1)
	v_fma_f64 v[17:18], v[13:14], v[17:18], s[0:1]
	s_delay_alu instid0(VALU_DEP_2)
	v_fma_f64 v[19:20], v[15:16], v[19:20], s[0:1]
	s_mov_b32 s0, 0x1852b7b0
	s_mov_b32 s1, 0x3f56c16c
	s_delay_alu instid0(VALU_DEP_2) | instid1(SALU_CYCLE_1)
	v_fma_f64 v[17:18], v[13:14], v[17:18], s[0:1]
	s_delay_alu instid0(VALU_DEP_2)
	v_fma_f64 v[19:20], v[15:16], v[19:20], s[0:1]
	s_mov_b32 s0, 0x11122322
	s_mov_b32 s1, 0x3f811111
	s_delay_alu instid0(VALU_DEP_2) | instid1(SALU_CYCLE_1)
	v_fma_f64 v[17:18], v[13:14], v[17:18], s[0:1]
	s_delay_alu instid0(VALU_DEP_2)
	v_fma_f64 v[19:20], v[15:16], v[19:20], s[0:1]
	s_mov_b32 s0, 0x555502a1
	s_mov_b32 s1, 0x3fa55555
	s_delay_alu instid0(VALU_DEP_2) | instid1(SALU_CYCLE_1)
	v_fma_f64 v[17:18], v[13:14], v[17:18], s[0:1]
	s_delay_alu instid0(VALU_DEP_2)
	v_fma_f64 v[19:20], v[15:16], v[19:20], s[0:1]
	s_mov_b32 s0, 0x55555511
	s_mov_b32 s1, 0x3fc55555
	s_delay_alu instid0(VALU_DEP_2) | instid1(SALU_CYCLE_1)
	v_fma_f64 v[17:18], v[13:14], v[17:18], s[0:1]
	s_delay_alu instid0(VALU_DEP_2)
	v_fma_f64 v[19:20], v[15:16], v[19:20], s[0:1]
	s_mov_b32 s0, 11
	s_mov_b32 s1, 0x3fe00000
	s_delay_alu instid0(VALU_DEP_2) | instid1(SALU_CYCLE_1)
	v_fma_f64 v[17:18], v[13:14], v[17:18], s[0:1]
	s_delay_alu instid0(VALU_DEP_2) | instskip(SKIP_2) | instid1(VALU_DEP_4)
	v_fma_f64 v[19:20], v[15:16], v[19:20], s[0:1]
	v_cmp_nlt_f64_e64 s1, 0x40900000, v[3:4]
	v_cmp_ngt_f64_e64 s0, 0xc090cc00, v[5:6]
	v_fma_f64 v[17:18], v[13:14], v[17:18], 1.0
	s_delay_alu instid0(VALU_DEP_4) | instskip(NEXT) | instid1(VALU_DEP_2)
	v_fma_f64 v[19:20], v[15:16], v[19:20], 1.0
	v_fma_f64 v[9:10], v[13:14], v[17:18], 1.0
	v_cvt_i32_f64_e32 v13, v[11:12]
	s_delay_alu instid0(VALU_DEP_3) | instskip(NEXT) | instid1(VALU_DEP_3)
	v_fma_f64 v[11:12], v[15:16], v[19:20], 1.0
	v_ldexp_f64 v[9:10], v[9:10], v0
	s_delay_alu instid0(VALU_DEP_2) | instskip(NEXT) | instid1(VALU_DEP_2)
	v_ldexp_f64 v[11:12], v[11:12], v13
	v_cndmask_b32_e32 v0, 0x7ff00000, v10, vcc_lo
	s_and_b32 vcc_lo, s0, vcc_lo
	s_delay_alu instid0(VALU_DEP_2) | instskip(NEXT) | instid1(VALU_DEP_4)
	v_cndmask_b32_e64 v5, 0x7ff00000, v12, s1
	v_cndmask_b32_e32 v3, 0, v9, vcc_lo
	v_mov_b32_e32 v9, 0
	s_and_b32 vcc_lo, s2, s1
	v_cndmask_b32_e64 v4, 0, v0, s0
	v_cndmask_b32_e64 v6, 0, v5, s2
	v_cndmask_b32_e32 v5, 0, v11, vcc_lo
	s_mov_b32 s1, 0x3fe55555
	s_mov_b32 s0, 0x55555555
	s_delay_alu instid0(VALU_DEP_1) | instskip(NEXT) | instid1(VALU_DEP_1)
	v_add_f64 v[3:4], v[3:4], v[5:6]
	v_frexp_mant_f64_e32 v[5:6], v[3:4]
	v_frexp_exp_i32_f64_e32 v0, v[3:4]
	s_delay_alu instid0(VALU_DEP_2) | instskip(SKIP_2) | instid1(VALU_DEP_3)
	v_cmp_gt_f64_e32 vcc_lo, s[0:1], v[5:6]
	s_mov_b32 s0, 0x55555780
	v_cndmask_b32_e64 v10, 0x3ff00000, 2.0, vcc_lo
	v_subrev_co_ci_u32_e32 v0, vcc_lo, 0, v0, vcc_lo
	v_cmp_class_f64_e64 vcc_lo, v[3:4], 0x204
	s_delay_alu instid0(VALU_DEP_3) | instskip(NEXT) | instid1(VALU_DEP_1)
	v_mul_f64 v[5:6], v[5:6], v[9:10]
	v_add_f64 v[9:10], v[5:6], 1.0
	v_add_f64 v[15:16], v[5:6], -1.0
	s_delay_alu instid0(VALU_DEP_2) | instskip(SKIP_1) | instid1(VALU_DEP_1)
	v_rcp_f64_e32 v[11:12], v[9:10]
	v_add_f64 v[17:18], v[9:10], -1.0
	v_add_f64 v[5:6], v[5:6], -v[17:18]
	s_waitcnt_depctr 0xfff
	v_fma_f64 v[13:14], -v[9:10], v[11:12], 1.0
	s_delay_alu instid0(VALU_DEP_1) | instskip(NEXT) | instid1(VALU_DEP_1)
	v_fma_f64 v[11:12], v[13:14], v[11:12], v[11:12]
	v_fma_f64 v[13:14], -v[9:10], v[11:12], 1.0
	s_delay_alu instid0(VALU_DEP_1) | instskip(NEXT) | instid1(VALU_DEP_1)
	v_fma_f64 v[11:12], v[13:14], v[11:12], v[11:12]
	v_mul_f64 v[13:14], v[15:16], v[11:12]
	s_delay_alu instid0(VALU_DEP_1) | instskip(NEXT) | instid1(VALU_DEP_1)
	v_mul_f64 v[19:20], v[9:10], v[13:14]
	v_fma_f64 v[9:10], v[13:14], v[9:10], -v[19:20]
	s_delay_alu instid0(VALU_DEP_1) | instskip(NEXT) | instid1(VALU_DEP_1)
	v_fma_f64 v[5:6], v[13:14], v[5:6], v[9:10]
	v_add_f64 v[9:10], v[19:20], v[5:6]
	s_delay_alu instid0(VALU_DEP_1) | instskip(SKIP_1) | instid1(VALU_DEP_2)
	v_add_f64 v[17:18], v[15:16], -v[9:10]
	v_add_f64 v[19:20], v[9:10], -v[19:20]
	;; [unrolled: 1-line block ×3, first 2 shown]
	s_delay_alu instid0(VALU_DEP_2) | instskip(NEXT) | instid1(VALU_DEP_2)
	v_add_f64 v[5:6], v[19:20], -v[5:6]
	v_add_f64 v[9:10], v[15:16], -v[9:10]
	s_delay_alu instid0(VALU_DEP_1) | instskip(NEXT) | instid1(VALU_DEP_1)
	v_add_f64 v[5:6], v[5:6], v[9:10]
	v_add_f64 v[5:6], v[17:18], v[5:6]
	s_delay_alu instid0(VALU_DEP_1) | instskip(NEXT) | instid1(VALU_DEP_1)
	v_mul_f64 v[5:6], v[11:12], v[5:6]
	v_add_f64 v[9:10], v[13:14], v[5:6]
	s_delay_alu instid0(VALU_DEP_1) | instskip(NEXT) | instid1(VALU_DEP_1)
	v_mul_f64 v[11:12], v[9:10], v[9:10]
	v_fma_f64 v[15:16], v[11:12], s[10:11], s[8:9]
	s_mov_b32 s8, 0xd7f4df2e
	s_mov_b32 s9, 0x3fc7474d
	v_mul_f64 v[17:18], v[9:10], v[11:12]
	s_delay_alu instid0(VALU_DEP_2)
	v_fma_f64 v[15:16], v[11:12], v[15:16], s[8:9]
	s_mov_b32 s8, 0x16291751
	s_mov_b32 s9, 0x3fcc71c0
	s_delay_alu instid0(VALU_DEP_1) | instid1(SALU_CYCLE_1)
	v_fma_f64 v[15:16], v[11:12], v[15:16], s[8:9]
	s_mov_b32 s8, 0x9b27acf1
	s_mov_b32 s9, 0x3fd24924
	s_delay_alu instid0(VALU_DEP_1) | instid1(SALU_CYCLE_1)
	;; [unrolled: 4-line block ×3, first 2 shown]
	v_fma_f64 v[15:16], v[11:12], v[15:16], s[8:9]
	s_delay_alu instid0(VALU_DEP_1) | instskip(SKIP_2) | instid1(VALU_DEP_3)
	v_fma_f64 v[11:12], v[11:12], v[15:16], s[0:1]
	v_ldexp_f64 v[15:16], v[9:10], 1
	v_add_f64 v[9:10], v[9:10], -v[13:14]
	v_mul_f64 v[11:12], v[17:18], v[11:12]
	v_cvt_f64_i32_e32 v[17:18], v0
	s_delay_alu instid0(VALU_DEP_3) | instskip(NEXT) | instid1(VALU_DEP_3)
	v_add_f64 v[5:6], v[5:6], -v[9:10]
	v_add_f64 v[13:14], v[15:16], v[11:12]
	s_delay_alu instid0(VALU_DEP_3) | instskip(NEXT) | instid1(VALU_DEP_3)
	v_mul_f64 v[19:20], v[17:18], s[6:7]
	v_ldexp_f64 v[5:6], v[5:6], 1
	s_delay_alu instid0(VALU_DEP_3) | instskip(NEXT) | instid1(VALU_DEP_3)
	v_add_f64 v[9:10], v[13:14], -v[15:16]
	v_fma_f64 v[15:16], v[17:18], s[6:7], -v[19:20]
	s_delay_alu instid0(VALU_DEP_2) | instskip(NEXT) | instid1(VALU_DEP_2)
	v_add_f64 v[9:10], v[11:12], -v[9:10]
	v_fma_f64 v[11:12], v[17:18], s[4:5], v[15:16]
	s_delay_alu instid0(VALU_DEP_2) | instskip(NEXT) | instid1(VALU_DEP_2)
	v_add_f64 v[5:6], v[5:6], v[9:10]
	v_add_f64 v[9:10], v[19:20], v[11:12]
	s_delay_alu instid0(VALU_DEP_2) | instskip(NEXT) | instid1(VALU_DEP_2)
	v_add_f64 v[15:16], v[13:14], v[5:6]
	v_add_f64 v[19:20], v[9:10], -v[19:20]
	s_delay_alu instid0(VALU_DEP_2) | instskip(SKIP_1) | instid1(VALU_DEP_3)
	v_add_f64 v[17:18], v[9:10], v[15:16]
	v_add_f64 v[13:14], v[15:16], -v[13:14]
	v_add_f64 v[11:12], v[11:12], -v[19:20]
	s_delay_alu instid0(VALU_DEP_3) | instskip(NEXT) | instid1(VALU_DEP_3)
	v_add_f64 v[21:22], v[17:18], -v[9:10]
	v_add_f64 v[5:6], v[5:6], -v[13:14]
	s_delay_alu instid0(VALU_DEP_2) | instskip(SKIP_1) | instid1(VALU_DEP_3)
	v_add_f64 v[23:24], v[17:18], -v[21:22]
	v_add_f64 v[13:14], v[15:16], -v[21:22]
	v_add_f64 v[15:16], v[11:12], v[5:6]
	s_delay_alu instid0(VALU_DEP_3) | instskip(NEXT) | instid1(VALU_DEP_1)
	v_add_f64 v[9:10], v[9:10], -v[23:24]
	v_add_f64 v[9:10], v[13:14], v[9:10]
	s_delay_alu instid0(VALU_DEP_3) | instskip(NEXT) | instid1(VALU_DEP_2)
	v_add_f64 v[13:14], v[15:16], -v[11:12]
	v_add_f64 v[9:10], v[15:16], v[9:10]
	s_delay_alu instid0(VALU_DEP_2) | instskip(SKIP_1) | instid1(VALU_DEP_3)
	v_add_f64 v[15:16], v[15:16], -v[13:14]
	v_add_f64 v[5:6], v[5:6], -v[13:14]
	v_add_f64 v[19:20], v[17:18], v[9:10]
	s_delay_alu instid0(VALU_DEP_3) | instskip(NEXT) | instid1(VALU_DEP_2)
	v_add_f64 v[11:12], v[11:12], -v[15:16]
	v_add_f64 v[13:14], v[19:20], -v[17:18]
	s_delay_alu instid0(VALU_DEP_2) | instskip(NEXT) | instid1(VALU_DEP_2)
	v_add_f64 v[5:6], v[5:6], v[11:12]
	v_add_f64 v[9:10], v[9:10], -v[13:14]
	s_delay_alu instid0(VALU_DEP_1) | instskip(NEXT) | instid1(VALU_DEP_1)
	v_add_f64 v[5:6], v[5:6], v[9:10]
	v_add_f64 v[5:6], v[19:20], v[5:6]
	s_delay_alu instid0(VALU_DEP_1) | instskip(SKIP_1) | instid1(VALU_DEP_2)
	v_dual_cndmask_b32 v0, v5, v3 :: v_dual_cndmask_b32 v5, v6, v4
	v_cmp_ngt_f64_e32 vcc_lo, 0, v[3:4]
	v_cndmask_b32_e32 v6, 0x7ff80000, v5, vcc_lo
	v_cmp_nge_f64_e32 vcc_lo, 0, v[3:4]
	s_delay_alu instid0(VALU_DEP_4) | instskip(SKIP_1) | instid1(VALU_DEP_4)
	v_cndmask_b32_e32 v5, 0, v0, vcc_lo
	v_cmp_neq_f64_e32 vcc_lo, 0, v[3:4]
	v_cndmask_b32_e32 v6, 0xfff00000, v6, vcc_lo
	v_add_co_u32 v0, vcc_lo, s18, v1
	v_add_co_ci_u32_e32 v1, vcc_lo, s19, v2, vcc_lo
	s_delay_alu instid0(VALU_DEP_3) | instskip(NEXT) | instid1(VALU_DEP_1)
	v_add_f64 v[3:4], v[7:8], v[5:6]
	v_xor_b32_e32 v4, 0x80000000, v4
	global_store_b64 v[0:1], v[3:4], off
.LBB1_52:
	s_or_b32 exec_lo, exec_lo, s3
                                        ; implicit-def: $vgpr0
                                        ; implicit-def: $vgpr1_vgpr2
                                        ; implicit-def: $vgpr3_vgpr4
.LBB1_53:
	s_and_not1_saveexec_b32 s0, s33
	s_cbranch_execz .LBB1_56
; %bb.54:
	v_and_b32_e32 v0, 0x3ff, v0
	s_delay_alu instid0(VALU_DEP_1)
	v_cmp_eq_u32_e32 vcc_lo, 0, v0
	s_and_b32 exec_lo, exec_lo, vcc_lo
	s_cbranch_execz .LBB1_56
; %bb.55:
	v_add_co_u32 v0, vcc_lo, s18, v1
	v_add_co_ci_u32_e32 v1, vcc_lo, s19, v2, vcc_lo
	s_waitcnt vmcnt(0)
	v_cmp_eq_u64_e32 vcc_lo, 0, v[3:4]
	v_bfrev_b32_e32 v5, 1
	s_delay_alu instid0(VALU_DEP_1)
	v_dual_mov_b32 v2, 0 :: v_dual_cndmask_b32 v3, 0x7ff00000, v5
	global_store_b64 v[0:1], v[2:3], off
.LBB1_56:
	s_nop 0
	s_sendmsg sendmsg(MSG_DEALLOC_VGPRS)
	s_endpgm
	.section	.rodata,"a",@progbits
	.p2align	6, 0x0
	.amdhsa_kernel _ZN2at6native12_GLOBAL__N_129ctc_loss_log_alpha_gpu_kernelIdiEEvPT_PKS3_PKllPKT0_S8_lS4_llllllS8_lll
		.amdhsa_group_segment_fixed_size 0
		.amdhsa_private_segment_fixed_size 0
		.amdhsa_kernarg_size 400
		.amdhsa_user_sgpr_count 14
		.amdhsa_user_sgpr_dispatch_ptr 0
		.amdhsa_user_sgpr_queue_ptr 0
		.amdhsa_user_sgpr_kernarg_segment_ptr 1
		.amdhsa_user_sgpr_dispatch_id 0
		.amdhsa_user_sgpr_private_segment_size 0
		.amdhsa_wavefront_size32 1
		.amdhsa_uses_dynamic_stack 0
		.amdhsa_enable_private_segment 0
		.amdhsa_system_sgpr_workgroup_id_x 1
		.amdhsa_system_sgpr_workgroup_id_y 1
		.amdhsa_system_sgpr_workgroup_id_z 0
		.amdhsa_system_sgpr_workgroup_info 0
		.amdhsa_system_vgpr_workitem_id 1
		.amdhsa_next_free_vgpr 61
		.amdhsa_next_free_sgpr 90
		.amdhsa_reserve_vcc 1
		.amdhsa_float_round_mode_32 0
		.amdhsa_float_round_mode_16_64 0
		.amdhsa_float_denorm_mode_32 3
		.amdhsa_float_denorm_mode_16_64 3
		.amdhsa_dx10_clamp 1
		.amdhsa_ieee_mode 1
		.amdhsa_fp16_overflow 0
		.amdhsa_workgroup_processor_mode 1
		.amdhsa_memory_ordered 1
		.amdhsa_forward_progress 0
		.amdhsa_shared_vgpr_count 0
		.amdhsa_exception_fp_ieee_invalid_op 0
		.amdhsa_exception_fp_denorm_src 0
		.amdhsa_exception_fp_ieee_div_zero 0
		.amdhsa_exception_fp_ieee_overflow 0
		.amdhsa_exception_fp_ieee_underflow 0
		.amdhsa_exception_fp_ieee_inexact 0
		.amdhsa_exception_int_div_zero 0
	.end_amdhsa_kernel
	.section	.text._ZN2at6native12_GLOBAL__N_129ctc_loss_log_alpha_gpu_kernelIdiEEvPT_PKS3_PKllPKT0_S8_lS4_llllllS8_lll,"axG",@progbits,_ZN2at6native12_GLOBAL__N_129ctc_loss_log_alpha_gpu_kernelIdiEEvPT_PKS3_PKllPKT0_S8_lS4_llllllS8_lll,comdat
.Lfunc_end1:
	.size	_ZN2at6native12_GLOBAL__N_129ctc_loss_log_alpha_gpu_kernelIdiEEvPT_PKS3_PKllPKT0_S8_lS4_llllllS8_lll, .Lfunc_end1-_ZN2at6native12_GLOBAL__N_129ctc_loss_log_alpha_gpu_kernelIdiEEvPT_PKS3_PKllPKT0_S8_lS4_llllllS8_lll
                                        ; -- End function
	.section	.AMDGPU.csdata,"",@progbits
; Kernel info:
; codeLenInByte = 6240
; NumSgprs: 92
; NumVgprs: 61
; ScratchSize: 0
; MemoryBound: 0
; FloatMode: 240
; IeeeMode: 1
; LDSByteSize: 0 bytes/workgroup (compile time only)
; SGPRBlocks: 11
; VGPRBlocks: 7
; NumSGPRsForWavesPerEU: 92
; NumVGPRsForWavesPerEU: 61
; Occupancy: 14
; WaveLimiterHint : 1
; COMPUTE_PGM_RSRC2:SCRATCH_EN: 0
; COMPUTE_PGM_RSRC2:USER_SGPR: 14
; COMPUTE_PGM_RSRC2:TRAP_HANDLER: 0
; COMPUTE_PGM_RSRC2:TGID_X_EN: 1
; COMPUTE_PGM_RSRC2:TGID_Y_EN: 1
; COMPUTE_PGM_RSRC2:TGID_Z_EN: 0
; COMPUTE_PGM_RSRC2:TIDIG_COMP_CNT: 1
	.section	.text._ZN2at6native12_GLOBAL__N_129ctc_loss_log_alpha_gpu_kernelIflEEvPT_PKS3_PKllPKT0_S8_lS4_llllllS8_lll,"axG",@progbits,_ZN2at6native12_GLOBAL__N_129ctc_loss_log_alpha_gpu_kernelIflEEvPT_PKS3_PKllPKT0_S8_lS4_llllllS8_lll,comdat
	.globl	_ZN2at6native12_GLOBAL__N_129ctc_loss_log_alpha_gpu_kernelIflEEvPT_PKS3_PKllPKT0_S8_lS4_llllllS8_lll ; -- Begin function _ZN2at6native12_GLOBAL__N_129ctc_loss_log_alpha_gpu_kernelIflEEvPT_PKS3_PKllPKT0_S8_lS4_llllllS8_lll
	.p2align	8
	.type	_ZN2at6native12_GLOBAL__N_129ctc_loss_log_alpha_gpu_kernelIflEEvPT_PKS3_PKllPKT0_S8_lS4_llllllS8_lll,@function
_ZN2at6native12_GLOBAL__N_129ctc_loss_log_alpha_gpu_kernelIflEEvPT_PKS3_PKllPKT0_S8_lS4_llllllS8_lll: ; @_ZN2at6native12_GLOBAL__N_129ctc_loss_log_alpha_gpu_kernelIflEEvPT_PKS3_PKllPKT0_S8_lS4_llllllS8_lll
; %bb.0:
	s_clause 0x1
	s_load_b32 s2, s[0:1], 0x9c
	s_load_b128 s[16:19], s[0:1], 0x78
	v_bfe_u32 v3, v0, 10, 10
	s_add_u32 s26, s0, 0x90
	s_addc_u32 s27, s1, 0
	s_waitcnt lgkmcnt(0)
	s_lshr_b32 s2, s2, 16
	s_delay_alu instid0(SALU_CYCLE_1) | instskip(SKIP_2) | instid1(VALU_DEP_1)
	v_mad_u64_u32 v[1:2], null, s15, s2, v[3:4]
	v_mov_b32_e32 v2, 0
	s_mov_b32 s2, exec_lo
	v_cmpx_gt_i64_e64 s[18:19], v[1:2]
	s_cbranch_execz .LBB2_56
; %bb.1:
	s_clause 0x1
	s_load_b64 s[2:3], s[0:1], 0x10
	s_load_b64 s[4:5], s[0:1], 0x28
	v_lshlrev_b64 v[7:8], 3, v[1:2]
	s_load_b64 s[18:19], s[0:1], 0x38
	s_waitcnt lgkmcnt(0)
	s_delay_alu instid0(VALU_DEP_1) | instskip(NEXT) | instid1(VALU_DEP_2)
	v_add_co_u32 v3, vcc_lo, s2, v7
	v_add_co_ci_u32_e32 v4, vcc_lo, s3, v8, vcc_lo
	s_mov_b32 s2, exec_lo
	global_load_b64 v[5:6], v[3:4], off
	v_add_co_u32 v3, vcc_lo, s4, v7
	v_add_co_ci_u32_e32 v4, vcc_lo, s5, v8, vcc_lo
	global_load_b64 v[3:4], v[3:4], off
	s_waitcnt vmcnt(1)
	v_cmpx_ne_u64_e32 0, v[5:6]
	s_xor_b32 s33, exec_lo, s2
	s_cbranch_execz .LBB2_53
; %bb.2:
	s_clause 0x2
	s_load_b64 s[2:3], s[0:1], 0x70
	s_load_b128 s[12:15], s[0:1], 0x60
	s_load_b256 s[4:11], s[0:1], 0x40
	s_waitcnt lgkmcnt(0)
	v_add_co_u32 v7, vcc_lo, s2, v7
	v_add_co_ci_u32_e32 v8, vcc_lo, s3, v8, vcc_lo
	v_mad_u64_u32 v[9:10], null, v1, s6, 0
	v_mad_u64_u32 v[11:12], null, v1, s10, 0
	global_load_b64 v[7:8], v[7:8], off
	s_clause 0x3
	s_load_b64 s[30:31], s[0:1], 0x30
	s_load_b128 s[20:23], s[0:1], 0x0
	s_load_b64 s[28:29], s[0:1], 0x20
	s_load_b64 s[24:25], s[0:1], 0x88
	v_mad_u64_u32 v[13:14], null, v1, s7, v[10:11]
	s_delay_alu instid0(VALU_DEP_1) | instskip(SKIP_4) | instid1(VALU_DEP_3)
	v_mad_u64_u32 v[14:15], null, v1, s11, v[12:13]
	v_mov_b32_e32 v10, v13
	s_waitcnt lgkmcnt(0)
	v_cmp_gt_i64_e64 s3, s[30:31], -1
	s_lshl_b64 s[6:7], s[30:31], 1
	v_mov_b32_e32 v12, v14
	v_lshlrev_b64 v[13:14], 2, v[9:10]
	s_delay_alu instid0(VALU_DEP_3)
	s_and_b32 vcc_lo, exec_lo, s3
	s_waitcnt vmcnt(0)
	v_lshlrev_b64 v[9:10], 3, v[7:8]
	v_lshlrev_b64 v[7:8], 2, v[11:12]
	s_cbranch_vccz .LBB2_17
; %bb.3:
	v_and_b32_e32 v31, 0x3ff, v0
	s_load_b32 s10, s[26:27], 0xc
	v_cmp_ne_u64_e64 s2, 0, v[3:4]
	s_delay_alu instid0(VALU_DEP_2) | instskip(NEXT) | instid1(VALU_DEP_1)
	v_mad_u64_u32 v[15:16], null, s14, v31, 0
	v_mov_b32_e32 v11, v16
	s_delay_alu instid0(VALU_DEP_1) | instskip(SKIP_3) | instid1(VALU_DEP_4)
	v_mad_u64_u32 v[16:17], null, s15, v31, v[11:12]
	v_add_co_u32 v11, vcc_lo, s28, v9
	v_add_co_ci_u32_e32 v12, vcc_lo, s29, v10, vcc_lo
	v_add_co_u32 v21, vcc_lo, s22, v13
	v_lshlrev_b64 v[15:16], 2, v[15:16]
	v_add_co_ci_u32_e32 v22, vcc_lo, s23, v14, vcc_lo
	s_waitcnt lgkmcnt(0)
	s_and_b32 s34, s10, 0xffff
	s_delay_alu instid0(SALU_CYCLE_1) | instskip(NEXT) | instid1(VALU_DEP_2)
	s_mul_i32 s10, s15, s34
	v_add_co_u32 v15, vcc_lo, v15, v7
	v_add_co_ci_u32_e32 v16, vcc_lo, v16, v8, vcc_lo
	s_mul_hi_u32 s11, s14, s34
	s_delay_alu instid0(VALU_DEP_2) | instskip(NEXT) | instid1(VALU_DEP_2)
	v_add_co_u32 v15, vcc_lo, s20, v15
	v_add_co_ci_u32_e32 v16, vcc_lo, s21, v16, vcc_lo
	s_add_i32 s31, s11, s10
	s_mul_i32 s30, s14, s34
	s_mov_b64 s[10:11], 0
	s_lshl_b64 s[30:31], s[30:31], 2
	s_branch .LBB2_5
.LBB2_4:                                ;   in Loop: Header=BB2_5 Depth=1
	s_or_b32 exec_lo, exec_lo, s35
	s_add_u32 s10, s10, s34
	s_addc_u32 s11, s11, 0
	v_add_co_u32 v15, vcc_lo, v15, s30
	v_cmp_gt_i64_e64 s35, s[10:11], s[6:7]
	v_add_co_ci_u32_e32 v16, vcc_lo, s31, v16, vcc_lo
	s_delay_alu instid0(VALU_DEP_2)
	s_and_b32 vcc_lo, exec_lo, s35
	s_cbranch_vccnz .LBB2_18
.LBB2_5:                                ; =>This Inner Loop Header: Depth=1
	v_add_co_u32 v17, s35, v31, s10
	s_delay_alu instid0(VALU_DEP_1) | instskip(SKIP_2) | instid1(VALU_DEP_1)
	v_add_co_ci_u32_e64 v18, null, 0, s11, s35
	s_mov_b32 s36, 0
	s_mov_b32 s35, exec_lo
                                        ; implicit-def: $vgpr19_vgpr20
                                        ; implicit-def: $sgpr37
	v_cmpx_lt_i64_e32 0, v[17:18]
	s_xor_b32 s35, exec_lo, s35
	s_cbranch_execz .LBB2_13
; %bb.6:                                ;   in Loop: Header=BB2_5 Depth=1
	s_mov_b32 s38, 0
	s_mov_b32 s36, exec_lo
                                        ; implicit-def: $vgpr19_vgpr20
	v_cmpx_eq_u64_e32 1, v[17:18]
	s_cbranch_execz .LBB2_10
; %bb.7:                                ;   in Loop: Header=BB2_5 Depth=1
	s_mov_b32 s37, 0
                                        ; implicit-def: $vgpr19_vgpr20
	s_and_saveexec_b32 s38, s2
	s_delay_alu instid0(SALU_CYCLE_1)
	s_xor_b32 s38, exec_lo, s38
	s_cbranch_execz .LBB2_9
; %bb.8:                                ;   in Loop: Header=BB2_5 Depth=1
	global_load_b64 v[19:20], v[11:12], off
	s_mov_b32 s37, exec_lo
.LBB2_9:                                ;   in Loop: Header=BB2_5 Depth=1
	s_or_b32 exec_lo, exec_lo, s38
	s_delay_alu instid0(SALU_CYCLE_1)
	s_and_b32 s38, s37, exec_lo
.LBB2_10:                               ;   in Loop: Header=BB2_5 Depth=1
	s_or_b32 exec_lo, exec_lo, s36
	s_mov_b32 s37, 0xff800000
	s_and_b32 s36, s38, exec_lo
	s_or_saveexec_b32 s35, s35
	s_waitcnt vmcnt(0)
	v_mov_b32_e32 v23, s37
	s_xor_b32 exec_lo, exec_lo, s35
	s_cbranch_execnz .LBB2_14
.LBB2_11:                               ;   in Loop: Header=BB2_5 Depth=1
	s_or_b32 exec_lo, exec_lo, s35
	s_and_saveexec_b32 s35, s36
	s_cbranch_execz .LBB2_15
.LBB2_12:                               ;   in Loop: Header=BB2_5 Depth=1
	s_waitcnt vmcnt(0)
	v_mul_lo_u32 v20, v20, s8
	v_mul_lo_u32 v25, v19, s9
	v_mad_u64_u32 v[23:24], null, v19, s8, 0
	s_delay_alu instid0(VALU_DEP_1) | instskip(NEXT) | instid1(VALU_DEP_1)
	v_add3_u32 v24, v24, v25, v20
	v_lshlrev_b64 v[19:20], 2, v[23:24]
	s_delay_alu instid0(VALU_DEP_1) | instskip(NEXT) | instid1(VALU_DEP_2)
	v_add_co_u32 v19, vcc_lo, v21, v19
	v_add_co_ci_u32_e32 v20, vcc_lo, v22, v20, vcc_lo
	global_load_b32 v23, v[19:20], off
	s_or_b32 exec_lo, exec_lo, s35
	s_delay_alu instid0(SALU_CYCLE_1)
	s_mov_b32 s35, exec_lo
	v_cmpx_ge_i64_e64 s[6:7], v[17:18]
	s_cbranch_execz .LBB2_4
	s_branch .LBB2_16
.LBB2_13:                               ;   in Loop: Header=BB2_5 Depth=1
	s_or_saveexec_b32 s35, s35
	s_waitcnt vmcnt(0)
	v_mov_b32_e32 v23, s37
	s_xor_b32 exec_lo, exec_lo, s35
	s_cbranch_execz .LBB2_11
.LBB2_14:                               ;   in Loop: Header=BB2_5 Depth=1
	v_cmp_eq_u64_e32 vcc_lo, 0, v[17:18]
	s_waitcnt vmcnt(0)
	v_dual_mov_b32 v19, s24 :: v_dual_mov_b32 v20, s25
	v_mov_b32_e32 v23, 0xff800000
	s_and_not1_b32 s36, s36, exec_lo
	s_and_b32 s37, vcc_lo, exec_lo
	s_delay_alu instid0(SALU_CYCLE_1)
	s_or_b32 s36, s36, s37
	s_or_b32 exec_lo, exec_lo, s35
	s_and_saveexec_b32 s35, s36
	s_cbranch_execnz .LBB2_12
.LBB2_15:                               ;   in Loop: Header=BB2_5 Depth=1
	s_or_b32 exec_lo, exec_lo, s35
	s_delay_alu instid0(SALU_CYCLE_1)
	s_mov_b32 s35, exec_lo
	v_cmpx_ge_i64_e64 s[6:7], v[17:18]
	s_cbranch_execz .LBB2_4
.LBB2_16:                               ;   in Loop: Header=BB2_5 Depth=1
	s_waitcnt vmcnt(0)
	global_store_b32 v[15:16], v23, off
	s_branch .LBB2_4
.LBB2_17:
                                        ; implicit-def: $vgpr31
	s_cbranch_execnz .LBB2_19
	s_branch .LBB2_20
.LBB2_18:
	s_branch .LBB2_20
.LBB2_19:
	v_and_b32_e32 v31, 0x3ff, v0
.LBB2_20:
	v_cmp_lt_i64_e64 s2, 0, v[3:4]
	s_and_not1_b32 vcc_lo, exec_lo, s3
	s_cbranch_vccnz .LBB2_48
; %bb.21:
	s_delay_alu instid0(VALU_DEP_2)
	v_mad_u64_u32 v[11:12], null, s14, v31, 0
	s_load_b64 s[10:11], s[0:1], 0x18
	s_load_b32 s0, s[26:27], 0xc
	s_lshl_b64 s[26:27], s[12:13], 2
	v_add_co_u32 v0, vcc_lo, s28, v9
	s_waitcnt vmcnt(0)
	v_add_co_u32 v19, s1, v31, -2
	s_delay_alu instid0(VALU_DEP_3) | instskip(SKIP_2) | instid1(VALU_DEP_4)
	v_mad_u64_u32 v[15:16], null, s15, v31, v[12:13]
	v_add_co_ci_u32_e32 v32, vcc_lo, s29, v10, vcc_lo
	v_add_co_ci_u32_e64 v17, null, 0, -1, s1
	v_mul_lo_u32 v21, s15, v19
	v_lshlrev_b64 v[9:10], 1, v[3:4]
	v_mov_b32_e32 v12, v15
	s_delay_alu instid0(VALU_DEP_4)
	v_mul_lo_u32 v22, s14, v17
	v_mad_u64_u32 v[17:18], null, s14, v19, 0
	s_waitcnt lgkmcnt(0)
	v_cmp_gt_i64_e64 s34, s[10:11], 1
	v_lshlrev_b64 v[15:16], 2, v[11:12]
	s_and_b32 s35, s0, 0xffff
	s_add_u32 s3, s20, s26
	s_mul_i32 s1, s15, s35
	s_mul_hi_u32 s29, s14, s35
	s_addc_u32 s28, s21, s27
	v_add_co_u32 v11, vcc_lo, s3, v15
	v_add_co_u32 v23, s3, v31, -1
	s_delay_alu instid0(VALU_DEP_1) | instskip(SKIP_1) | instid1(VALU_DEP_2)
	v_add_co_ci_u32_e64 v20, null, 0, -1, s3
	s_mul_i32 s0, s14, s35
	v_mul_lo_u32 v24, s15, v23
	s_add_i32 s1, s29, s1
	s_delay_alu instid0(VALU_DEP_2)
	v_mul_lo_u32 v25, s14, v20
	v_mad_u64_u32 v[19:20], null, s14, v23, 0
	v_add3_u32 v18, v18, v22, v21
	s_lshl_b64 s[4:5], s[4:5], 2
	v_add_co_ci_u32_e32 v12, vcc_lo, s28, v16, vcc_lo
	s_lshl_b64 s[28:29], s[0:1], 2
	s_add_u32 s0, s22, s4
	s_delay_alu instid0(VALU_DEP_3)
	v_add3_u32 v20, v20, v25, v24
	s_addc_u32 s1, s23, s5
	v_add_co_u32 v13, vcc_lo, s0, v13
	v_lshlrev_b64 v[17:18], 2, v[17:18]
	v_add_co_ci_u32_e32 v14, vcc_lo, s1, v14, vcc_lo
	v_add_co_u32 v15, vcc_lo, s20, v15
	v_lshlrev_b64 v[19:20], 2, v[19:20]
	v_add_co_ci_u32_e32 v16, vcc_lo, s21, v16, vcc_lo
	v_add_co_u32 v17, vcc_lo, s20, v17
	v_add_co_ci_u32_e32 v18, vcc_lo, s21, v18, vcc_lo
	s_delay_alu instid0(VALU_DEP_4)
	v_add_co_u32 v19, vcc_lo, s20, v19
	v_add_co_ci_u32_e32 v20, vcc_lo, s21, v20, vcc_lo
	s_mov_b64 s[22:23], 0
	s_lshl_b64 s[8:9], s[8:9], 2
	s_branch .LBB2_23
.LBB2_22:                               ;   in Loop: Header=BB2_23 Depth=1
	v_add_co_u32 v11, vcc_lo, v11, s28
	v_add_co_ci_u32_e32 v12, vcc_lo, s29, v12, vcc_lo
	v_add_co_u32 v15, vcc_lo, v15, s28
	s_add_u32 s22, s22, s35
	v_add_co_ci_u32_e32 v16, vcc_lo, s29, v16, vcc_lo
	s_addc_u32 s23, s23, 0
	v_add_co_u32 v17, vcc_lo, v17, s28
	v_cmp_gt_i64_e64 s0, s[22:23], s[6:7]
	v_add_co_ci_u32_e32 v18, vcc_lo, s29, v18, vcc_lo
	v_add_co_u32 v19, vcc_lo, v19, s28
	v_add_co_ci_u32_e32 v20, vcc_lo, s29, v20, vcc_lo
	s_delay_alu instid0(VALU_DEP_4)
	s_and_b32 vcc_lo, exec_lo, s0
	s_cbranch_vccnz .LBB2_48
.LBB2_23:                               ; =>This Loop Header: Depth=1
                                        ;     Child Loop BB2_34 Depth 2
	v_add_co_u32 v23, s0, s22, v31
	s_delay_alu instid0(VALU_DEP_1) | instskip(SKIP_3) | instid1(VALU_DEP_2)
	v_add_co_ci_u32_e64 v24, null, s23, 0, s0
	s_waitcnt vmcnt(0)
	v_dual_mov_b32 v26, s25 :: v_dual_mov_b32 v25, s24
	s_mov_b32 s36, 0
	v_cmp_le_i64_e64 s1, v[23:24], v[9:10]
	s_delay_alu instid0(VALU_DEP_1) | instskip(NEXT) | instid1(SALU_CYCLE_1)
	s_and_b32 s0, s2, s1
	s_and_saveexec_b32 s3, s0
	s_cbranch_execz .LBB2_31
; %bb.24:                               ;   in Loop: Header=BB2_23 Depth=1
	v_dual_mov_b32 v26, s25 :: v_dual_and_b32 v21, 1, v23
	v_mov_b32_e32 v25, s24
	s_delay_alu instid0(VALU_DEP_2)
	v_cmp_eq_u32_e32 vcc_lo, 1, v21
	s_and_saveexec_b32 s30, vcc_lo
	s_cbranch_execz .LBB2_26
; %bb.25:                               ;   in Loop: Header=BB2_23 Depth=1
	v_alignbit_b32 v25, v24, v23, 1
	v_lshrrev_b32_e32 v26, 1, v24
	s_delay_alu instid0(VALU_DEP_2) | instskip(SKIP_1) | instid1(VALU_DEP_3)
	v_mul_lo_u32 v27, v25, s17
	v_mad_u64_u32 v[21:22], null, v25, s16, 0
	v_mul_lo_u32 v25, v26, s16
	s_delay_alu instid0(VALU_DEP_1) | instskip(NEXT) | instid1(VALU_DEP_1)
	v_add3_u32 v22, v22, v27, v25
	v_lshlrev_b64 v[21:22], 3, v[21:22]
	s_delay_alu instid0(VALU_DEP_1) | instskip(NEXT) | instid1(VALU_DEP_1)
	v_add_co_u32 v21, s0, v0, v21
	v_add_co_ci_u32_e64 v22, s0, v32, v22, s0
	global_load_b64 v[25:26], v[21:22], off
.LBB2_26:                               ;   in Loop: Header=BB2_23 Depth=1
	s_or_b32 exec_lo, exec_lo, s30
	s_mov_b32 s31, 0
	s_mov_b32 s30, exec_lo
	v_cmpx_lt_u64_e32 1, v[23:24]
	s_cbranch_execz .LBB2_30
; %bb.27:                               ;   in Loop: Header=BB2_23 Depth=1
	v_dual_mov_b32 v21, s24 :: v_dual_mov_b32 v22, s25
	s_and_saveexec_b32 s0, vcc_lo
	s_cbranch_execz .LBB2_29
; %bb.28:                               ;   in Loop: Header=BB2_23 Depth=1
	v_add_co_u32 v21, vcc_lo, v23, -2
	v_add_co_ci_u32_e32 v22, vcc_lo, -1, v24, vcc_lo
	s_delay_alu instid0(VALU_DEP_1) | instskip(NEXT) | instid1(VALU_DEP_1)
	v_lshrrev_b32_e32 v27, 31, v22
	v_add_co_u32 v21, vcc_lo, v21, v27
	v_add_co_ci_u32_e32 v22, vcc_lo, 0, v22, vcc_lo
	s_delay_alu instid0(VALU_DEP_1) | instskip(NEXT) | instid1(VALU_DEP_1)
	v_ashrrev_i64 v[21:22], 1, v[21:22]
	v_mul_lo_u32 v22, v22, s16
	s_delay_alu instid0(VALU_DEP_2) | instskip(SKIP_1) | instid1(VALU_DEP_1)
	v_mul_lo_u32 v29, v21, s17
	v_mad_u64_u32 v[27:28], null, v21, s16, 0
	v_add3_u32 v28, v28, v29, v22
	s_delay_alu instid0(VALU_DEP_1) | instskip(NEXT) | instid1(VALU_DEP_1)
	v_lshlrev_b64 v[21:22], 3, v[27:28]
	v_add_co_u32 v21, vcc_lo, v0, v21
	s_delay_alu instid0(VALU_DEP_2)
	v_add_co_ci_u32_e32 v22, vcc_lo, v32, v22, vcc_lo
	global_load_b64 v[21:22], v[21:22], off
.LBB2_29:                               ;   in Loop: Header=BB2_23 Depth=1
	s_or_b32 exec_lo, exec_lo, s0
	s_waitcnt vmcnt(0)
	v_cmp_ne_u64_e32 vcc_lo, v[21:22], v[25:26]
	s_and_b32 s31, vcc_lo, exec_lo
.LBB2_30:                               ;   in Loop: Header=BB2_23 Depth=1
	s_or_b32 exec_lo, exec_lo, s30
	s_delay_alu instid0(SALU_CYCLE_1)
	s_and_b32 s36, s31, exec_lo
.LBB2_31:                               ;   in Loop: Header=BB2_23 Depth=1
	s_or_b32 exec_lo, exec_lo, s3
	s_delay_alu instid0(SALU_CYCLE_1)
	s_and_not1_b32 vcc_lo, exec_lo, s34
	s_cbranch_vccnz .LBB2_22
; %bb.32:                               ;   in Loop: Header=BB2_23 Depth=1
	s_waitcnt vmcnt(0)
	v_mad_u64_u32 v[21:22], null, s8, v25, v[13:14]
	v_mul_lo_u32 v27, s8, v26
	v_mul_lo_u32 v28, s9, v25
	v_cmp_ge_i64_e32 vcc_lo, s[6:7], v[23:24]
	v_cmp_ne_u64_e64 s0, 0, v[23:24]
	v_dual_mov_b32 v24, v20 :: v_dual_mov_b32 v23, v19
	v_dual_mov_b32 v26, v18 :: v_dual_mov_b32 v25, v17
	;; [unrolled: 1-line block ×3, first 2 shown]
	v_add3_u32 v22, v28, v22, v27
	v_dual_mov_b32 v28, v16 :: v_dual_mov_b32 v27, v15
	s_mov_b64 s[30:31], 1
	s_xor_b32 s37, s1, -1
	s_branch .LBB2_34
.LBB2_33:                               ;   in Loop: Header=BB2_34 Depth=2
	s_or_b32 exec_lo, exec_lo, s3
	v_add_co_u32 v29, s1, v29, s26
	s_delay_alu instid0(VALU_DEP_1) | instskip(SKIP_1) | instid1(VALU_DEP_1)
	v_add_co_ci_u32_e64 v30, s1, s27, v30, s1
	v_add_co_u32 v21, s1, v21, s4
	v_add_co_ci_u32_e64 v22, s1, s5, v22, s1
	v_add_co_u32 v27, s1, v27, s26
	s_delay_alu instid0(VALU_DEP_1) | instskip(SKIP_1) | instid1(VALU_DEP_1)
	v_add_co_ci_u32_e64 v28, s1, s27, v28, s1
	v_add_co_u32 v25, s1, v25, s26
	v_add_co_ci_u32_e64 v26, s1, s27, v26, s1
	v_add_co_u32 v23, s1, v23, s26
	s_add_u32 s30, s30, 1
	v_add_co_ci_u32_e64 v24, s1, s27, v24, s1
	s_addc_u32 s31, s31, 0
	s_delay_alu instid0(SALU_CYCLE_1)
	s_cmp_eq_u64 s[10:11], s[30:31]
	s_cbranch_scc1 .LBB2_22
.LBB2_34:                               ;   Parent Loop BB2_23 Depth=1
                                        ; =>  This Inner Loop Header: Depth=2
	v_cmp_ge_i64_e64 s1, s[30:31], v[5:6]
	s_mov_b32 s38, 0
	s_waitcnt_vscnt null, 0x0
	s_barrier
	buffer_gl0_inv
	s_or_b32 s3, s37, s1
                                        ; implicit-def: $sgpr1
	s_delay_alu instid0(SALU_CYCLE_1) | instskip(NEXT) | instid1(SALU_CYCLE_1)
	s_and_saveexec_b32 s39, s3
	s_xor_b32 s3, exec_lo, s39
	s_cbranch_execz .LBB2_37
; %bb.35:                               ;   in Loop: Header=BB2_34 Depth=2
	s_mov_b32 s1, 0xff800000
	s_and_b32 s38, vcc_lo, exec_lo
	s_or_saveexec_b32 s39, s3
	v_mov_b32_e32 v33, s1
	s_xor_b32 exec_lo, exec_lo, s39
	s_cbranch_execnz .LBB2_38
.LBB2_36:                               ;   in Loop: Header=BB2_34 Depth=2
	s_or_b32 exec_lo, exec_lo, s39
	s_and_saveexec_b32 s3, s38
	s_cbranch_execz .LBB2_33
	s_branch .LBB2_47
.LBB2_37:                               ;   in Loop: Header=BB2_34 Depth=2
	s_or_saveexec_b32 s39, s3
	v_mov_b32_e32 v33, s1
	s_xor_b32 exec_lo, exec_lo, s39
	s_cbranch_execz .LBB2_36
.LBB2_38:                               ;   in Loop: Header=BB2_34 Depth=2
	v_add_co_u32 v33, s1, v27, v7
	s_delay_alu instid0(VALU_DEP_1)
	v_add_co_ci_u32_e64 v34, s1, v28, v8, s1
	v_mov_b32_e32 v35, 0xff800000
	global_load_b32 v33, v[33:34], off
	v_mov_b32_e32 v34, 0xff800000
	s_waitcnt vmcnt(0)
	v_mov_b32_e32 v36, v33
	s_and_saveexec_b32 s3, s0
	s_cbranch_execz .LBB2_42
; %bb.39:                               ;   in Loop: Header=BB2_34 Depth=2
	v_add_co_u32 v35, s1, v23, v7
	s_delay_alu instid0(VALU_DEP_1)
	v_add_co_ci_u32_e64 v36, s1, v24, v8, s1
	s_mov_b32 s40, exec_lo
	global_load_b32 v35, v[35:36], off
	v_mov_b32_e32 v36, v33
	s_waitcnt vmcnt(0)
	v_cmpx_gt_f32_e32 v35, v33
; %bb.40:                               ;   in Loop: Header=BB2_34 Depth=2
	v_mov_b32_e32 v36, v35
; %bb.41:                               ;   in Loop: Header=BB2_34 Depth=2
	s_or_b32 exec_lo, exec_lo, s40
.LBB2_42:                               ;   in Loop: Header=BB2_34 Depth=2
	s_delay_alu instid0(SALU_CYCLE_1)
	s_or_b32 exec_lo, exec_lo, s3
	s_and_saveexec_b32 s3, s36
	s_cbranch_execz .LBB2_46
; %bb.43:                               ;   in Loop: Header=BB2_34 Depth=2
	v_add_co_u32 v37, s1, v25, v7
	s_delay_alu instid0(VALU_DEP_1)
	v_add_co_ci_u32_e64 v38, s1, v26, v8, s1
	s_mov_b32 s40, exec_lo
	global_load_b32 v34, v[37:38], off
	s_waitcnt vmcnt(0)
	v_cmpx_gt_f32_e32 v34, v36
; %bb.44:                               ;   in Loop: Header=BB2_34 Depth=2
	v_mov_b32_e32 v36, v34
; %bb.45:                               ;   in Loop: Header=BB2_34 Depth=2
	s_or_b32 exec_lo, exec_lo, s40
.LBB2_46:                               ;   in Loop: Header=BB2_34 Depth=2
	s_delay_alu instid0(SALU_CYCLE_1) | instskip(SKIP_3) | instid1(VALU_DEP_1)
	s_or_b32 exec_lo, exec_lo, s3
	global_load_b32 v37, v[21:22], off
	v_cmp_neq_f32_e64 s1, 0xff800000, v36
	s_or_b32 s38, s38, exec_lo
	v_cndmask_b32_e64 v36, 0, v36, s1
	s_delay_alu instid0(VALU_DEP_1) | instskip(NEXT) | instid1(VALU_DEP_1)
	v_sub_f32_e32 v34, v34, v36
	v_dual_sub_f32 v33, v33, v36 :: v_dual_mul_f32 v44, 0x3fb8aa3b, v34
	s_delay_alu instid0(VALU_DEP_1) | instskip(SKIP_1) | instid1(VALU_DEP_3)
	v_dual_sub_f32 v35, v35, v36 :: v_dual_mul_f32 v38, 0x3fb8aa3b, v33
	v_cmp_ngt_f32_e64 s1, 0xc2ce8ed0, v33
	v_rndne_f32_e32 v46, v44
	s_delay_alu instid0(VALU_DEP_3) | instskip(NEXT) | instid1(VALU_DEP_4)
	v_rndne_f32_e32 v41, v38
	v_mul_f32_e32 v39, 0x3fb8aa3b, v35
	v_fma_f32 v40, 0x3fb8aa3b, v33, -v38
	s_delay_alu instid0(VALU_DEP_3) | instskip(NEXT) | instid1(VALU_DEP_3)
	v_sub_f32_e32 v38, v38, v41
	v_rndne_f32_e32 v43, v39
	v_fma_f32 v42, 0x3fb8aa3b, v35, -v39
	v_cvt_i32_f32_e32 v41, v41
	s_delay_alu instid0(VALU_DEP_3) | instskip(SKIP_1) | instid1(VALU_DEP_1)
	v_sub_f32_e32 v39, v39, v43
	v_fma_f32 v45, 0x3fb8aa3b, v34, -v44
	v_dual_fmac_f32 v42, 0x32a5705f, v35 :: v_dual_fmac_f32 v45, 0x32a5705f, v34
	s_delay_alu instid0(VALU_DEP_1) | instskip(SKIP_1) | instid1(VALU_DEP_2)
	v_dual_fmac_f32 v40, 0x32a5705f, v33 :: v_dual_add_f32 v39, v39, v42
	v_cvt_i32_f32_e32 v42, v43
	v_add_f32_e32 v38, v38, v40
	s_delay_alu instid0(VALU_DEP_3) | instskip(NEXT) | instid1(VALU_DEP_1)
	v_exp_f32_e32 v39, v39
	v_exp_f32_e32 v38, v38
	s_waitcnt_depctr 0xfff
	v_ldexp_f32 v39, v39, v42
	v_ldexp_f32 v38, v38, v41
	v_cvt_i32_f32_e32 v41, v46
	s_delay_alu instid0(VALU_DEP_2) | instskip(SKIP_1) | instid1(VALU_DEP_1)
	v_cndmask_b32_e64 v38, 0, v38, s1
	v_cmp_ngt_f32_e64 s1, 0xc2ce8ed0, v35
	v_cndmask_b32_e64 v39, 0, v39, s1
	v_cmp_nlt_f32_e64 s1, 0x42b17218, v33
	s_delay_alu instid0(VALU_DEP_1) | instskip(SKIP_1) | instid1(VALU_DEP_1)
	v_cndmask_b32_e64 v33, 0x7f800000, v38, s1
	v_cmp_nlt_f32_e64 s1, 0x42b17218, v35
	v_cndmask_b32_e64 v35, 0x7f800000, v39, s1
	v_cmp_ngt_f32_e64 s1, 0xc2ce8ed0, v34
	s_delay_alu instid0(VALU_DEP_2) | instskip(NEXT) | instid1(VALU_DEP_1)
	v_dual_add_f32 v33, v33, v35 :: v_dual_sub_f32 v40, v44, v46
	v_add_f32_e32 v40, v40, v45
	s_delay_alu instid0(VALU_DEP_1) | instskip(SKIP_2) | instid1(VALU_DEP_1)
	v_exp_f32_e32 v40, v40
	s_waitcnt_depctr 0xfff
	v_ldexp_f32 v40, v40, v41
	v_cndmask_b32_e64 v38, 0, v40, s1
	v_cmp_nlt_f32_e64 s1, 0x42b17218, v34
	s_delay_alu instid0(VALU_DEP_1) | instskip(NEXT) | instid1(VALU_DEP_1)
	v_cndmask_b32_e64 v34, 0x7f800000, v38, s1
	v_add_f32_e32 v33, v34, v33
	s_delay_alu instid0(VALU_DEP_1) | instskip(NEXT) | instid1(VALU_DEP_1)
	v_cmp_gt_f32_e64 s1, 0x800000, v33
	v_cndmask_b32_e64 v34, 1.0, 0x4f800000, s1
	s_delay_alu instid0(VALU_DEP_1) | instskip(NEXT) | instid1(VALU_DEP_1)
	v_mul_f32_e32 v33, v33, v34
	v_log_f32_e32 v33, v33
	s_waitcnt_depctr 0xfff
	v_mul_f32_e32 v34, 0x3f317217, v33
	v_cmp_gt_f32_e64 s3, 0x7f800000, |v33|
	s_delay_alu instid0(VALU_DEP_2) | instskip(NEXT) | instid1(VALU_DEP_1)
	v_fma_f32 v35, 0x3f317217, v33, -v34
	v_fmac_f32_e32 v35, 0x3377d1cf, v33
	s_delay_alu instid0(VALU_DEP_1) | instskip(NEXT) | instid1(VALU_DEP_1)
	v_add_f32_e32 v34, v34, v35
	v_cndmask_b32_e64 v33, v33, v34, s3
	v_cndmask_b32_e64 v34, 0, 0x41b17218, s1
	s_delay_alu instid0(VALU_DEP_1) | instskip(NEXT) | instid1(VALU_DEP_1)
	v_sub_f32_e32 v33, v33, v34
	v_add_f32_e32 v33, v36, v33
	s_waitcnt vmcnt(0)
	s_delay_alu instid0(VALU_DEP_1)
	v_add_f32_e32 v33, v37, v33
	s_or_b32 exec_lo, exec_lo, s39
	s_and_saveexec_b32 s3, s38
	s_cbranch_execz .LBB2_33
.LBB2_47:                               ;   in Loop: Header=BB2_34 Depth=2
	v_add_co_u32 v34, s1, v29, v7
	s_delay_alu instid0(VALU_DEP_1)
	v_add_co_ci_u32_e64 v35, s1, v30, v8, s1
	global_store_b32 v[34:35], v33, off
	s_branch .LBB2_33
.LBB2_48:
	s_mov_b32 s0, exec_lo
	s_waitcnt vmcnt(0)
	s_waitcnt_vscnt null, 0x0
	s_barrier
	buffer_gl0_inv
	v_cmpx_eq_u32_e32 0, v31
	s_cbranch_execz .LBB2_52
; %bb.49:
	v_add_co_u32 v0, vcc_lo, v5, -1
	v_add_co_ci_u32_e32 v5, vcc_lo, -1, v6, vcc_lo
	v_mul_lo_u32 v13, v3, s15
	s_delay_alu instid0(VALU_DEP_3) | instskip(SKIP_1) | instid1(VALU_DEP_4)
	v_mul_lo_u32 v12, v0, s13
	v_mad_u64_u32 v[9:10], null, v0, s12, 0
	v_mul_lo_u32 v11, v5, s12
	v_mul_lo_u32 v0, v4, s14
	v_mad_u64_u32 v[5:6], null, v3, s14, 0
	s_mov_b32 s1, exec_lo
	s_delay_alu instid0(VALU_DEP_3) | instskip(NEXT) | instid1(VALU_DEP_2)
	v_add3_u32 v10, v10, v12, v11
	v_add3_u32 v6, v6, v13, v0
	v_add_co_u32 v0, vcc_lo, s20, v7
	s_delay_alu instid0(VALU_DEP_3) | instskip(SKIP_1) | instid1(VALU_DEP_4)
	v_lshlrev_b64 v[9:10], 2, v[9:10]
	v_add_co_ci_u32_e32 v7, vcc_lo, s21, v8, vcc_lo
	v_lshlrev_b64 v[11:12], 3, v[5:6]
	s_delay_alu instid0(VALU_DEP_3) | instskip(NEXT) | instid1(VALU_DEP_3)
	v_add_co_u32 v8, vcc_lo, v0, v9
	v_add_co_ci_u32_e32 v9, vcc_lo, v7, v10, vcc_lo
	v_mov_b32_e32 v0, 0xff800000
	s_delay_alu instid0(VALU_DEP_3) | instskip(NEXT) | instid1(VALU_DEP_3)
	v_add_co_u32 v10, vcc_lo, v8, v11
	v_add_co_ci_u32_e32 v11, vcc_lo, v9, v12, vcc_lo
	global_load_b32 v7, v[10:11], off
	v_cmpx_lt_i64_e32 0, v[3:4]
	s_cbranch_execz .LBB2_51
; %bb.50:
	v_lshlrev_b64 v[3:4], 1, v[5:6]
	s_delay_alu instid0(VALU_DEP_1) | instskip(NEXT) | instid1(VALU_DEP_2)
	v_sub_co_u32 v3, vcc_lo, v3, s14
	v_subrev_co_ci_u32_e32 v4, vcc_lo, s15, v4, vcc_lo
	s_delay_alu instid0(VALU_DEP_1) | instskip(NEXT) | instid1(VALU_DEP_1)
	v_lshlrev_b64 v[3:4], 2, v[3:4]
	v_add_co_u32 v3, vcc_lo, v8, v3
	s_delay_alu instid0(VALU_DEP_2)
	v_add_co_ci_u32_e32 v4, vcc_lo, v9, v4, vcc_lo
	global_load_b32 v0, v[3:4], off
.LBB2_51:
	s_or_b32 exec_lo, exec_lo, s1
	s_waitcnt vmcnt(0)
	v_cmp_gt_f32_e32 vcc_lo, v7, v0
	v_cndmask_b32_e32 v3, v0, v7, vcc_lo
	s_delay_alu instid0(VALU_DEP_1) | instskip(SKIP_1) | instid1(VALU_DEP_1)
	v_cmp_neq_f32_e32 vcc_lo, 0xff800000, v3
	v_cndmask_b32_e32 v3, 0, v3, vcc_lo
	v_sub_f32_e32 v0, v0, v3
	s_delay_alu instid0(VALU_DEP_1) | instskip(NEXT) | instid1(VALU_DEP_1)
	v_mul_f32_e32 v6, 0x3fb8aa3b, v0
	v_rndne_f32_e32 v10, v6
	v_fma_f32 v9, 0x3fb8aa3b, v0, -v6
	s_delay_alu instid0(VALU_DEP_2) | instskip(SKIP_1) | instid1(VALU_DEP_1)
	v_sub_f32_e32 v6, v6, v10
	v_sub_f32_e32 v4, v7, v3
	v_mul_f32_e32 v5, 0x3fb8aa3b, v4
	s_delay_alu instid0(VALU_DEP_4) | instskip(NEXT) | instid1(VALU_DEP_2)
	v_fmac_f32_e32 v9, 0x32a5705f, v0
	v_fma_f32 v7, 0x3fb8aa3b, v4, -v5
	v_rndne_f32_e32 v8, v5
	s_delay_alu instid0(VALU_DEP_1) | instskip(NEXT) | instid1(VALU_DEP_3)
	v_dual_add_f32 v6, v6, v9 :: v_dual_sub_f32 v5, v5, v8
	v_fmac_f32_e32 v7, 0x32a5705f, v4
	v_cmp_ngt_f32_e32 vcc_lo, 0xc2ce8ed0, v4
	s_delay_alu instid0(VALU_DEP_3) | instskip(NEXT) | instid1(VALU_DEP_2)
	v_exp_f32_e32 v6, v6
	v_add_f32_e32 v5, v5, v7
	v_cvt_i32_f32_e32 v7, v8
	v_cvt_i32_f32_e32 v8, v10
	s_delay_alu instid0(VALU_DEP_3) | instskip(SKIP_3) | instid1(VALU_DEP_1)
	v_exp_f32_e32 v5, v5
	s_waitcnt_depctr 0xfff
	v_ldexp_f32 v6, v6, v8
	v_ldexp_f32 v5, v5, v7
	v_cndmask_b32_e32 v5, 0, v5, vcc_lo
	v_cmp_ngt_f32_e32 vcc_lo, 0xc2ce8ed0, v0
	s_delay_alu instid0(VALU_DEP_4) | instskip(SKIP_1) | instid1(VALU_DEP_4)
	v_cndmask_b32_e32 v6, 0, v6, vcc_lo
	v_cmp_nlt_f32_e32 vcc_lo, 0x42b17218, v4
	v_cndmask_b32_e32 v4, 0x7f800000, v5, vcc_lo
	v_cmp_nlt_f32_e32 vcc_lo, 0x42b17218, v0
	s_delay_alu instid0(VALU_DEP_4) | instskip(NEXT) | instid1(VALU_DEP_1)
	v_cndmask_b32_e32 v0, 0x7f800000, v6, vcc_lo
	v_add_f32_e32 v0, v4, v0
	s_delay_alu instid0(VALU_DEP_1) | instskip(SKIP_1) | instid1(VALU_DEP_1)
	v_cmp_gt_f32_e32 vcc_lo, 0x800000, v0
	v_cndmask_b32_e64 v4, 1.0, 0x4f800000, vcc_lo
	v_mul_f32_e32 v0, v0, v4
	s_delay_alu instid0(VALU_DEP_1) | instskip(SKIP_2) | instid1(VALU_DEP_1)
	v_log_f32_e32 v0, v0
	s_waitcnt_depctr 0xfff
	v_mul_f32_e32 v4, 0x3f317217, v0
	v_fma_f32 v5, 0x3f317217, v0, -v4
	s_delay_alu instid0(VALU_DEP_1) | instskip(NEXT) | instid1(VALU_DEP_1)
	v_fmamk_f32 v5, v0, 0x3377d1cf, v5
	v_add_f32_e32 v4, v4, v5
	v_cndmask_b32_e64 v5, 0, 0x41b17218, vcc_lo
	v_cmp_gt_f32_e64 vcc_lo, 0x7f800000, |v0|
	s_delay_alu instid0(VALU_DEP_3) | instskip(NEXT) | instid1(VALU_DEP_1)
	v_cndmask_b32_e32 v0, v0, v4, vcc_lo
	v_sub_f32_e32 v0, v0, v5
	s_delay_alu instid0(VALU_DEP_1) | instskip(SKIP_1) | instid1(VALU_DEP_2)
	v_add_f32_e32 v3, v3, v0
	v_lshlrev_b64 v[0:1], 2, v[1:2]
	v_xor_b32_e32 v2, 0x80000000, v3
	s_delay_alu instid0(VALU_DEP_2) | instskip(NEXT) | instid1(VALU_DEP_3)
	v_add_co_u32 v0, vcc_lo, s18, v0
	v_add_co_ci_u32_e32 v1, vcc_lo, s19, v1, vcc_lo
	global_store_b32 v[0:1], v2, off
.LBB2_52:
	s_or_b32 exec_lo, exec_lo, s0
                                        ; implicit-def: $vgpr0
                                        ; implicit-def: $vgpr1_vgpr2
                                        ; implicit-def: $vgpr3_vgpr4
.LBB2_53:
	s_and_not1_saveexec_b32 s0, s33
	s_cbranch_execz .LBB2_56
; %bb.54:
	v_and_b32_e32 v0, 0x3ff, v0
	s_delay_alu instid0(VALU_DEP_1)
	v_cmp_eq_u32_e32 vcc_lo, 0, v0
	s_and_b32 exec_lo, exec_lo, vcc_lo
	s_cbranch_execz .LBB2_56
; %bb.55:
	v_lshlrev_b64 v[0:1], 2, v[1:2]
	v_bfrev_b32_e32 v2, 1
	s_delay_alu instid0(VALU_DEP_2) | instskip(NEXT) | instid1(VALU_DEP_3)
	v_add_co_u32 v0, vcc_lo, s18, v0
	v_add_co_ci_u32_e32 v1, vcc_lo, s19, v1, vcc_lo
	s_waitcnt vmcnt(0)
	v_cmp_eq_u64_e32 vcc_lo, 0, v[3:4]
	v_cndmask_b32_e32 v2, 0x7f800000, v2, vcc_lo
	global_store_b32 v[0:1], v2, off
.LBB2_56:
	s_nop 0
	s_sendmsg sendmsg(MSG_DEALLOC_VGPRS)
	s_endpgm
	.section	.rodata,"a",@progbits
	.p2align	6, 0x0
	.amdhsa_kernel _ZN2at6native12_GLOBAL__N_129ctc_loss_log_alpha_gpu_kernelIflEEvPT_PKS3_PKllPKT0_S8_lS4_llllllS8_lll
		.amdhsa_group_segment_fixed_size 0
		.amdhsa_private_segment_fixed_size 0
		.amdhsa_kernarg_size 400
		.amdhsa_user_sgpr_count 14
		.amdhsa_user_sgpr_dispatch_ptr 0
		.amdhsa_user_sgpr_queue_ptr 0
		.amdhsa_user_sgpr_kernarg_segment_ptr 1
		.amdhsa_user_sgpr_dispatch_id 0
		.amdhsa_user_sgpr_private_segment_size 0
		.amdhsa_wavefront_size32 1
		.amdhsa_uses_dynamic_stack 0
		.amdhsa_enable_private_segment 0
		.amdhsa_system_sgpr_workgroup_id_x 1
		.amdhsa_system_sgpr_workgroup_id_y 1
		.amdhsa_system_sgpr_workgroup_id_z 0
		.amdhsa_system_sgpr_workgroup_info 0
		.amdhsa_system_vgpr_workitem_id 1
		.amdhsa_next_free_vgpr 47
		.amdhsa_next_free_sgpr 41
		.amdhsa_reserve_vcc 1
		.amdhsa_float_round_mode_32 0
		.amdhsa_float_round_mode_16_64 0
		.amdhsa_float_denorm_mode_32 3
		.amdhsa_float_denorm_mode_16_64 3
		.amdhsa_dx10_clamp 1
		.amdhsa_ieee_mode 1
		.amdhsa_fp16_overflow 0
		.amdhsa_workgroup_processor_mode 1
		.amdhsa_memory_ordered 1
		.amdhsa_forward_progress 0
		.amdhsa_shared_vgpr_count 0
		.amdhsa_exception_fp_ieee_invalid_op 0
		.amdhsa_exception_fp_denorm_src 0
		.amdhsa_exception_fp_ieee_div_zero 0
		.amdhsa_exception_fp_ieee_overflow 0
		.amdhsa_exception_fp_ieee_underflow 0
		.amdhsa_exception_fp_ieee_inexact 0
		.amdhsa_exception_int_div_zero 0
	.end_amdhsa_kernel
	.section	.text._ZN2at6native12_GLOBAL__N_129ctc_loss_log_alpha_gpu_kernelIflEEvPT_PKS3_PKllPKT0_S8_lS4_llllllS8_lll,"axG",@progbits,_ZN2at6native12_GLOBAL__N_129ctc_loss_log_alpha_gpu_kernelIflEEvPT_PKS3_PKllPKT0_S8_lS4_llllllS8_lll,comdat
.Lfunc_end2:
	.size	_ZN2at6native12_GLOBAL__N_129ctc_loss_log_alpha_gpu_kernelIflEEvPT_PKS3_PKllPKT0_S8_lS4_llllllS8_lll, .Lfunc_end2-_ZN2at6native12_GLOBAL__N_129ctc_loss_log_alpha_gpu_kernelIflEEvPT_PKS3_PKllPKT0_S8_lS4_llllllS8_lll
                                        ; -- End function
	.section	.AMDGPU.csdata,"",@progbits
; Kernel info:
; codeLenInByte = 3620
; NumSgprs: 43
; NumVgprs: 47
; ScratchSize: 0
; MemoryBound: 0
; FloatMode: 240
; IeeeMode: 1
; LDSByteSize: 0 bytes/workgroup (compile time only)
; SGPRBlocks: 5
; VGPRBlocks: 5
; NumSGPRsForWavesPerEU: 43
; NumVGPRsForWavesPerEU: 47
; Occupancy: 16
; WaveLimiterHint : 1
; COMPUTE_PGM_RSRC2:SCRATCH_EN: 0
; COMPUTE_PGM_RSRC2:USER_SGPR: 14
; COMPUTE_PGM_RSRC2:TRAP_HANDLER: 0
; COMPUTE_PGM_RSRC2:TGID_X_EN: 1
; COMPUTE_PGM_RSRC2:TGID_Y_EN: 1
; COMPUTE_PGM_RSRC2:TGID_Z_EN: 0
; COMPUTE_PGM_RSRC2:TIDIG_COMP_CNT: 1
	.section	.text._ZN2at6native12_GLOBAL__N_129ctc_loss_log_alpha_gpu_kernelIfiEEvPT_PKS3_PKllPKT0_S8_lS4_llllllS8_lll,"axG",@progbits,_ZN2at6native12_GLOBAL__N_129ctc_loss_log_alpha_gpu_kernelIfiEEvPT_PKS3_PKllPKT0_S8_lS4_llllllS8_lll,comdat
	.globl	_ZN2at6native12_GLOBAL__N_129ctc_loss_log_alpha_gpu_kernelIfiEEvPT_PKS3_PKllPKT0_S8_lS4_llllllS8_lll ; -- Begin function _ZN2at6native12_GLOBAL__N_129ctc_loss_log_alpha_gpu_kernelIfiEEvPT_PKS3_PKllPKT0_S8_lS4_llllllS8_lll
	.p2align	8
	.type	_ZN2at6native12_GLOBAL__N_129ctc_loss_log_alpha_gpu_kernelIfiEEvPT_PKS3_PKllPKT0_S8_lS4_llllllS8_lll,@function
_ZN2at6native12_GLOBAL__N_129ctc_loss_log_alpha_gpu_kernelIfiEEvPT_PKS3_PKllPKT0_S8_lS4_llllllS8_lll: ; @_ZN2at6native12_GLOBAL__N_129ctc_loss_log_alpha_gpu_kernelIfiEEvPT_PKS3_PKllPKT0_S8_lS4_llllllS8_lll
; %bb.0:
	s_clause 0x1
	s_load_b32 s2, s[0:1], 0x9c
	s_load_b128 s[16:19], s[0:1], 0x78
	v_bfe_u32 v3, v0, 10, 10
	s_add_u32 s26, s0, 0x90
	s_addc_u32 s27, s1, 0
	s_waitcnt lgkmcnt(0)
	s_lshr_b32 s2, s2, 16
	s_delay_alu instid0(SALU_CYCLE_1) | instskip(SKIP_2) | instid1(VALU_DEP_1)
	v_mad_u64_u32 v[1:2], null, s15, s2, v[3:4]
	v_mov_b32_e32 v2, 0
	s_mov_b32 s2, exec_lo
	v_cmpx_gt_i64_e64 s[18:19], v[1:2]
	s_cbranch_execz .LBB3_56
; %bb.1:
	s_clause 0x1
	s_load_b64 s[2:3], s[0:1], 0x10
	s_load_b64 s[4:5], s[0:1], 0x28
	v_lshlrev_b64 v[7:8], 3, v[1:2]
	s_load_b64 s[18:19], s[0:1], 0x38
	s_waitcnt lgkmcnt(0)
	s_delay_alu instid0(VALU_DEP_1) | instskip(NEXT) | instid1(VALU_DEP_2)
	v_add_co_u32 v3, vcc_lo, s2, v7
	v_add_co_ci_u32_e32 v4, vcc_lo, s3, v8, vcc_lo
	s_mov_b32 s2, exec_lo
	global_load_b64 v[5:6], v[3:4], off
	v_add_co_u32 v3, vcc_lo, s4, v7
	v_add_co_ci_u32_e32 v4, vcc_lo, s5, v8, vcc_lo
	global_load_b64 v[3:4], v[3:4], off
	s_waitcnt vmcnt(1)
	v_cmpx_ne_u64_e32 0, v[5:6]
	s_xor_b32 s33, exec_lo, s2
	s_cbranch_execz .LBB3_53
; %bb.2:
	s_clause 0x2
	s_load_b64 s[2:3], s[0:1], 0x70
	s_load_b128 s[12:15], s[0:1], 0x60
	s_load_b256 s[4:11], s[0:1], 0x40
	s_waitcnt lgkmcnt(0)
	v_add_co_u32 v7, vcc_lo, s2, v7
	v_add_co_ci_u32_e32 v8, vcc_lo, s3, v8, vcc_lo
	v_mad_u64_u32 v[9:10], null, v1, s6, 0
	v_mad_u64_u32 v[11:12], null, v1, s10, 0
	global_load_b64 v[7:8], v[7:8], off
	s_clause 0x3
	s_load_b64 s[30:31], s[0:1], 0x30
	s_load_b128 s[20:23], s[0:1], 0x0
	s_load_b64 s[28:29], s[0:1], 0x20
	s_load_b64 s[24:25], s[0:1], 0x88
	v_mad_u64_u32 v[13:14], null, v1, s7, v[10:11]
	s_delay_alu instid0(VALU_DEP_1) | instskip(SKIP_4) | instid1(VALU_DEP_3)
	v_mad_u64_u32 v[14:15], null, v1, s11, v[12:13]
	v_mov_b32_e32 v10, v13
	s_waitcnt lgkmcnt(0)
	v_cmp_gt_i64_e64 s3, s[30:31], -1
	s_lshl_b64 s[6:7], s[30:31], 1
	v_mov_b32_e32 v12, v14
	v_lshlrev_b64 v[13:14], 2, v[9:10]
	s_delay_alu instid0(VALU_DEP_3)
	s_and_b32 vcc_lo, exec_lo, s3
	s_waitcnt vmcnt(0)
	v_lshlrev_b64 v[9:10], 2, v[7:8]
	v_lshlrev_b64 v[7:8], 2, v[11:12]
	s_cbranch_vccz .LBB3_17
; %bb.3:
	v_and_b32_e32 v31, 0x3ff, v0
	s_load_b32 s10, s[26:27], 0xc
	v_cmp_ne_u64_e64 s2, 0, v[3:4]
	s_delay_alu instid0(VALU_DEP_2) | instskip(NEXT) | instid1(VALU_DEP_1)
	v_mad_u64_u32 v[15:16], null, s14, v31, 0
	v_mov_b32_e32 v11, v16
	s_delay_alu instid0(VALU_DEP_1) | instskip(SKIP_3) | instid1(VALU_DEP_4)
	v_mad_u64_u32 v[16:17], null, s15, v31, v[11:12]
	v_add_co_u32 v11, vcc_lo, s28, v9
	v_add_co_ci_u32_e32 v12, vcc_lo, s29, v10, vcc_lo
	v_add_co_u32 v21, vcc_lo, s22, v13
	v_lshlrev_b64 v[15:16], 2, v[15:16]
	v_add_co_ci_u32_e32 v22, vcc_lo, s23, v14, vcc_lo
	s_waitcnt lgkmcnt(0)
	s_and_b32 s34, s10, 0xffff
	s_delay_alu instid0(SALU_CYCLE_1) | instskip(NEXT) | instid1(VALU_DEP_2)
	s_mul_i32 s10, s15, s34
	v_add_co_u32 v15, vcc_lo, v15, v7
	v_add_co_ci_u32_e32 v16, vcc_lo, v16, v8, vcc_lo
	s_mul_hi_u32 s11, s14, s34
	s_delay_alu instid0(VALU_DEP_2) | instskip(NEXT) | instid1(VALU_DEP_2)
	v_add_co_u32 v15, vcc_lo, s20, v15
	v_add_co_ci_u32_e32 v16, vcc_lo, s21, v16, vcc_lo
	s_add_i32 s31, s11, s10
	s_mul_i32 s30, s14, s34
	s_mov_b64 s[10:11], 0
	s_lshl_b64 s[30:31], s[30:31], 2
	s_branch .LBB3_5
.LBB3_4:                                ;   in Loop: Header=BB3_5 Depth=1
	s_or_b32 exec_lo, exec_lo, s35
	s_add_u32 s10, s10, s34
	s_addc_u32 s11, s11, 0
	v_add_co_u32 v15, vcc_lo, v15, s30
	v_cmp_gt_i64_e64 s35, s[10:11], s[6:7]
	v_add_co_ci_u32_e32 v16, vcc_lo, s31, v16, vcc_lo
	s_delay_alu instid0(VALU_DEP_2)
	s_and_b32 vcc_lo, exec_lo, s35
	s_cbranch_vccnz .LBB3_18
.LBB3_5:                                ; =>This Inner Loop Header: Depth=1
	v_add_co_u32 v17, s35, v31, s10
	s_delay_alu instid0(VALU_DEP_1) | instskip(SKIP_2) | instid1(VALU_DEP_1)
	v_add_co_ci_u32_e64 v18, null, 0, s11, s35
	s_mov_b32 s36, 0
	s_mov_b32 s35, exec_lo
                                        ; implicit-def: $vgpr19_vgpr20
                                        ; implicit-def: $sgpr37
	v_cmpx_lt_i64_e32 0, v[17:18]
	s_xor_b32 s35, exec_lo, s35
	s_cbranch_execz .LBB3_13
; %bb.6:                                ;   in Loop: Header=BB3_5 Depth=1
	s_mov_b32 s38, 0
	s_mov_b32 s36, exec_lo
                                        ; implicit-def: $vgpr19_vgpr20
	v_cmpx_eq_u64_e32 1, v[17:18]
	s_cbranch_execz .LBB3_10
; %bb.7:                                ;   in Loop: Header=BB3_5 Depth=1
	s_mov_b32 s37, 0
                                        ; implicit-def: $vgpr19_vgpr20
	s_and_saveexec_b32 s38, s2
	s_delay_alu instid0(SALU_CYCLE_1)
	s_xor_b32 s38, exec_lo, s38
	s_cbranch_execz .LBB3_9
; %bb.8:                                ;   in Loop: Header=BB3_5 Depth=1
	global_load_b32 v19, v[11:12], off
	s_mov_b32 s37, exec_lo
	s_waitcnt vmcnt(0)
	v_ashrrev_i32_e32 v20, 31, v19
.LBB3_9:                                ;   in Loop: Header=BB3_5 Depth=1
	s_or_b32 exec_lo, exec_lo, s38
	s_delay_alu instid0(SALU_CYCLE_1)
	s_and_b32 s38, s37, exec_lo
.LBB3_10:                               ;   in Loop: Header=BB3_5 Depth=1
	s_or_b32 exec_lo, exec_lo, s36
	s_mov_b32 s37, 0xff800000
	s_and_b32 s36, s38, exec_lo
	s_or_saveexec_b32 s35, s35
	s_waitcnt vmcnt(0)
	v_mov_b32_e32 v23, s37
	s_xor_b32 exec_lo, exec_lo, s35
	s_cbranch_execnz .LBB3_14
.LBB3_11:                               ;   in Loop: Header=BB3_5 Depth=1
	s_or_b32 exec_lo, exec_lo, s35
	s_and_saveexec_b32 s35, s36
	s_cbranch_execz .LBB3_15
.LBB3_12:                               ;   in Loop: Header=BB3_5 Depth=1
	v_mul_lo_u32 v20, v20, s8
	v_mul_lo_u32 v25, v19, s9
	v_mad_u64_u32 v[23:24], null, v19, s8, 0
	s_delay_alu instid0(VALU_DEP_1) | instskip(NEXT) | instid1(VALU_DEP_1)
	v_add3_u32 v24, v24, v25, v20
	v_lshlrev_b64 v[19:20], 2, v[23:24]
	s_delay_alu instid0(VALU_DEP_1) | instskip(NEXT) | instid1(VALU_DEP_2)
	v_add_co_u32 v19, vcc_lo, v21, v19
	v_add_co_ci_u32_e32 v20, vcc_lo, v22, v20, vcc_lo
	global_load_b32 v23, v[19:20], off
	s_or_b32 exec_lo, exec_lo, s35
	s_delay_alu instid0(SALU_CYCLE_1)
	s_mov_b32 s35, exec_lo
	v_cmpx_ge_i64_e64 s[6:7], v[17:18]
	s_cbranch_execz .LBB3_4
	s_branch .LBB3_16
.LBB3_13:                               ;   in Loop: Header=BB3_5 Depth=1
	s_or_saveexec_b32 s35, s35
	s_waitcnt vmcnt(0)
	v_mov_b32_e32 v23, s37
	s_xor_b32 exec_lo, exec_lo, s35
	s_cbranch_execz .LBB3_11
.LBB3_14:                               ;   in Loop: Header=BB3_5 Depth=1
	v_cmp_eq_u64_e32 vcc_lo, 0, v[17:18]
	v_dual_mov_b32 v19, s24 :: v_dual_mov_b32 v20, s25
	v_mov_b32_e32 v23, 0xff800000
	s_and_not1_b32 s36, s36, exec_lo
	s_and_b32 s37, vcc_lo, exec_lo
	s_delay_alu instid0(SALU_CYCLE_1)
	s_or_b32 s36, s36, s37
	s_or_b32 exec_lo, exec_lo, s35
	s_and_saveexec_b32 s35, s36
	s_cbranch_execnz .LBB3_12
.LBB3_15:                               ;   in Loop: Header=BB3_5 Depth=1
	s_or_b32 exec_lo, exec_lo, s35
	s_delay_alu instid0(SALU_CYCLE_1)
	s_mov_b32 s35, exec_lo
	v_cmpx_ge_i64_e64 s[6:7], v[17:18]
	s_cbranch_execz .LBB3_4
.LBB3_16:                               ;   in Loop: Header=BB3_5 Depth=1
	s_waitcnt vmcnt(0)
	global_store_b32 v[15:16], v23, off
	s_branch .LBB3_4
.LBB3_17:
                                        ; implicit-def: $vgpr31
	s_cbranch_execnz .LBB3_19
	s_branch .LBB3_20
.LBB3_18:
	s_branch .LBB3_20
.LBB3_19:
	v_and_b32_e32 v31, 0x3ff, v0
.LBB3_20:
	v_cmp_lt_i64_e64 s2, 0, v[3:4]
	s_and_not1_b32 vcc_lo, exec_lo, s3
	s_cbranch_vccnz .LBB3_48
; %bb.21:
	s_delay_alu instid0(VALU_DEP_2)
	v_mad_u64_u32 v[11:12], null, s14, v31, 0
	s_load_b64 s[10:11], s[0:1], 0x18
	s_load_b32 s0, s[26:27], 0xc
	s_lshl_b64 s[26:27], s[12:13], 2
	v_add_co_u32 v0, vcc_lo, s28, v9
	v_add_co_u32 v19, s1, v31, -2
	s_delay_alu instid0(VALU_DEP_3) | instskip(SKIP_2) | instid1(VALU_DEP_4)
	v_mad_u64_u32 v[15:16], null, s15, v31, v[12:13]
	v_add_co_ci_u32_e32 v32, vcc_lo, s29, v10, vcc_lo
	v_add_co_ci_u32_e64 v17, null, 0, -1, s1
	v_mul_lo_u32 v21, s15, v19
	v_lshlrev_b64 v[9:10], 1, v[3:4]
	v_mov_b32_e32 v12, v15
	s_delay_alu instid0(VALU_DEP_4)
	v_mul_lo_u32 v22, s14, v17
	v_mad_u64_u32 v[17:18], null, s14, v19, 0
	s_waitcnt lgkmcnt(0)
	v_cmp_gt_i64_e64 s34, s[10:11], 1
	v_lshlrev_b64 v[15:16], 2, v[11:12]
	s_and_b32 s35, s0, 0xffff
	s_add_u32 s3, s20, s26
	s_mul_i32 s1, s15, s35
	s_mul_hi_u32 s29, s14, s35
	s_addc_u32 s28, s21, s27
	v_add_co_u32 v11, vcc_lo, s3, v15
	s_waitcnt vmcnt(0)
	v_add_co_u32 v23, s3, v31, -1
	s_delay_alu instid0(VALU_DEP_1) | instskip(SKIP_1) | instid1(VALU_DEP_2)
	v_add_co_ci_u32_e64 v20, null, 0, -1, s3
	s_mul_i32 s0, s14, s35
	v_mul_lo_u32 v24, s15, v23
	s_add_i32 s1, s29, s1
	s_delay_alu instid0(VALU_DEP_2)
	v_mul_lo_u32 v25, s14, v20
	v_mad_u64_u32 v[19:20], null, s14, v23, 0
	v_add3_u32 v18, v18, v22, v21
	s_lshl_b64 s[4:5], s[4:5], 2
	v_add_co_ci_u32_e32 v12, vcc_lo, s28, v16, vcc_lo
	s_lshl_b64 s[28:29], s[0:1], 2
	s_add_u32 s0, s22, s4
	s_delay_alu instid0(VALU_DEP_3)
	v_add3_u32 v20, v20, v25, v24
	s_addc_u32 s1, s23, s5
	v_add_co_u32 v13, vcc_lo, s0, v13
	v_lshlrev_b64 v[17:18], 2, v[17:18]
	v_add_co_ci_u32_e32 v14, vcc_lo, s1, v14, vcc_lo
	v_add_co_u32 v15, vcc_lo, s20, v15
	v_lshlrev_b64 v[19:20], 2, v[19:20]
	v_add_co_ci_u32_e32 v16, vcc_lo, s21, v16, vcc_lo
	v_add_co_u32 v17, vcc_lo, s20, v17
	v_add_co_ci_u32_e32 v18, vcc_lo, s21, v18, vcc_lo
	s_delay_alu instid0(VALU_DEP_4)
	v_add_co_u32 v19, vcc_lo, s20, v19
	v_add_co_ci_u32_e32 v20, vcc_lo, s21, v20, vcc_lo
	s_mov_b64 s[22:23], 0
	s_lshl_b64 s[8:9], s[8:9], 2
	s_branch .LBB3_23
.LBB3_22:                               ;   in Loop: Header=BB3_23 Depth=1
	v_add_co_u32 v11, vcc_lo, v11, s28
	v_add_co_ci_u32_e32 v12, vcc_lo, s29, v12, vcc_lo
	v_add_co_u32 v15, vcc_lo, v15, s28
	s_add_u32 s22, s22, s35
	v_add_co_ci_u32_e32 v16, vcc_lo, s29, v16, vcc_lo
	s_addc_u32 s23, s23, 0
	v_add_co_u32 v17, vcc_lo, v17, s28
	v_cmp_gt_i64_e64 s0, s[22:23], s[6:7]
	v_add_co_ci_u32_e32 v18, vcc_lo, s29, v18, vcc_lo
	v_add_co_u32 v19, vcc_lo, v19, s28
	v_add_co_ci_u32_e32 v20, vcc_lo, s29, v20, vcc_lo
	s_delay_alu instid0(VALU_DEP_4)
	s_and_b32 vcc_lo, exec_lo, s0
	s_cbranch_vccnz .LBB3_48
.LBB3_23:                               ; =>This Loop Header: Depth=1
                                        ;     Child Loop BB3_34 Depth 2
	v_add_co_u32 v23, s0, s22, v31
	s_delay_alu instid0(VALU_DEP_1) | instskip(SKIP_2) | instid1(VALU_DEP_2)
	v_add_co_ci_u32_e64 v24, null, s23, 0, s0
	v_dual_mov_b32 v26, s25 :: v_dual_mov_b32 v25, s24
	s_mov_b32 s36, 0
	v_cmp_le_i64_e64 s1, v[23:24], v[9:10]
	s_delay_alu instid0(VALU_DEP_1) | instskip(NEXT) | instid1(SALU_CYCLE_1)
	s_and_b32 s0, s2, s1
	s_and_saveexec_b32 s3, s0
	s_cbranch_execz .LBB3_31
; %bb.24:                               ;   in Loop: Header=BB3_23 Depth=1
	v_dual_mov_b32 v26, s25 :: v_dual_and_b32 v21, 1, v23
	v_mov_b32_e32 v25, s24
	s_delay_alu instid0(VALU_DEP_2)
	v_cmp_eq_u32_e32 vcc_lo, 1, v21
	s_and_saveexec_b32 s30, vcc_lo
	s_cbranch_execz .LBB3_26
; %bb.25:                               ;   in Loop: Header=BB3_23 Depth=1
	v_alignbit_b32 v25, v24, v23, 1
	v_lshrrev_b32_e32 v26, 1, v24
	s_delay_alu instid0(VALU_DEP_2) | instskip(SKIP_1) | instid1(VALU_DEP_3)
	v_mul_lo_u32 v27, v25, s17
	v_mad_u64_u32 v[21:22], null, v25, s16, 0
	v_mul_lo_u32 v25, v26, s16
	s_delay_alu instid0(VALU_DEP_1) | instskip(NEXT) | instid1(VALU_DEP_1)
	v_add3_u32 v22, v22, v27, v25
	v_lshlrev_b64 v[21:22], 2, v[21:22]
	s_delay_alu instid0(VALU_DEP_1) | instskip(NEXT) | instid1(VALU_DEP_1)
	v_add_co_u32 v21, s0, v0, v21
	v_add_co_ci_u32_e64 v22, s0, v32, v22, s0
	global_load_b32 v25, v[21:22], off
	s_waitcnt vmcnt(0)
	v_ashrrev_i32_e32 v26, 31, v25
.LBB3_26:                               ;   in Loop: Header=BB3_23 Depth=1
	s_or_b32 exec_lo, exec_lo, s30
	s_mov_b32 s31, 0
	s_mov_b32 s30, exec_lo
	v_cmpx_lt_u64_e32 1, v[23:24]
	s_cbranch_execz .LBB3_30
; %bb.27:                               ;   in Loop: Header=BB3_23 Depth=1
	v_dual_mov_b32 v21, s24 :: v_dual_mov_b32 v22, s25
	s_and_saveexec_b32 s0, vcc_lo
	s_cbranch_execz .LBB3_29
; %bb.28:                               ;   in Loop: Header=BB3_23 Depth=1
	v_add_co_u32 v21, vcc_lo, v23, -2
	v_add_co_ci_u32_e32 v22, vcc_lo, -1, v24, vcc_lo
	s_delay_alu instid0(VALU_DEP_1) | instskip(NEXT) | instid1(VALU_DEP_1)
	v_lshrrev_b32_e32 v27, 31, v22
	v_add_co_u32 v21, vcc_lo, v21, v27
	v_add_co_ci_u32_e32 v22, vcc_lo, 0, v22, vcc_lo
	s_delay_alu instid0(VALU_DEP_1) | instskip(NEXT) | instid1(VALU_DEP_1)
	v_ashrrev_i64 v[21:22], 1, v[21:22]
	v_mul_lo_u32 v22, v22, s16
	s_delay_alu instid0(VALU_DEP_2) | instskip(SKIP_1) | instid1(VALU_DEP_1)
	v_mul_lo_u32 v29, v21, s17
	v_mad_u64_u32 v[27:28], null, v21, s16, 0
	v_add3_u32 v28, v28, v29, v22
	s_delay_alu instid0(VALU_DEP_1) | instskip(NEXT) | instid1(VALU_DEP_1)
	v_lshlrev_b64 v[21:22], 2, v[27:28]
	v_add_co_u32 v21, vcc_lo, v0, v21
	s_delay_alu instid0(VALU_DEP_2)
	v_add_co_ci_u32_e32 v22, vcc_lo, v32, v22, vcc_lo
	global_load_b32 v21, v[21:22], off
	s_waitcnt vmcnt(0)
	v_ashrrev_i32_e32 v22, 31, v21
.LBB3_29:                               ;   in Loop: Header=BB3_23 Depth=1
	s_or_b32 exec_lo, exec_lo, s0
	s_delay_alu instid0(VALU_DEP_1)
	v_cmp_ne_u64_e32 vcc_lo, v[21:22], v[25:26]
	s_and_b32 s31, vcc_lo, exec_lo
.LBB3_30:                               ;   in Loop: Header=BB3_23 Depth=1
	s_or_b32 exec_lo, exec_lo, s30
	s_delay_alu instid0(SALU_CYCLE_1)
	s_and_b32 s36, s31, exec_lo
.LBB3_31:                               ;   in Loop: Header=BB3_23 Depth=1
	s_or_b32 exec_lo, exec_lo, s3
	s_delay_alu instid0(SALU_CYCLE_1)
	s_and_not1_b32 vcc_lo, exec_lo, s34
	s_cbranch_vccnz .LBB3_22
; %bb.32:                               ;   in Loop: Header=BB3_23 Depth=1
	v_mad_u64_u32 v[21:22], null, s8, v25, v[13:14]
	v_mul_lo_u32 v27, s8, v26
	v_mul_lo_u32 v28, s9, v25
	v_cmp_ge_i64_e32 vcc_lo, s[6:7], v[23:24]
	v_cmp_ne_u64_e64 s0, 0, v[23:24]
	v_dual_mov_b32 v24, v20 :: v_dual_mov_b32 v23, v19
	v_dual_mov_b32 v26, v18 :: v_dual_mov_b32 v25, v17
	;; [unrolled: 1-line block ×3, first 2 shown]
	v_add3_u32 v22, v28, v22, v27
	v_dual_mov_b32 v28, v16 :: v_dual_mov_b32 v27, v15
	s_mov_b64 s[30:31], 1
	s_xor_b32 s37, s1, -1
	s_branch .LBB3_34
.LBB3_33:                               ;   in Loop: Header=BB3_34 Depth=2
	s_or_b32 exec_lo, exec_lo, s3
	v_add_co_u32 v29, s1, v29, s26
	s_delay_alu instid0(VALU_DEP_1) | instskip(SKIP_1) | instid1(VALU_DEP_1)
	v_add_co_ci_u32_e64 v30, s1, s27, v30, s1
	v_add_co_u32 v21, s1, v21, s4
	v_add_co_ci_u32_e64 v22, s1, s5, v22, s1
	v_add_co_u32 v27, s1, v27, s26
	s_delay_alu instid0(VALU_DEP_1) | instskip(SKIP_1) | instid1(VALU_DEP_1)
	v_add_co_ci_u32_e64 v28, s1, s27, v28, s1
	v_add_co_u32 v25, s1, v25, s26
	v_add_co_ci_u32_e64 v26, s1, s27, v26, s1
	v_add_co_u32 v23, s1, v23, s26
	s_add_u32 s30, s30, 1
	v_add_co_ci_u32_e64 v24, s1, s27, v24, s1
	s_addc_u32 s31, s31, 0
	s_delay_alu instid0(SALU_CYCLE_1)
	s_cmp_eq_u64 s[10:11], s[30:31]
	s_cbranch_scc1 .LBB3_22
.LBB3_34:                               ;   Parent Loop BB3_23 Depth=1
                                        ; =>  This Inner Loop Header: Depth=2
	v_cmp_ge_i64_e64 s1, s[30:31], v[5:6]
	s_mov_b32 s38, 0
	s_waitcnt_vscnt null, 0x0
	s_barrier
	buffer_gl0_inv
	s_or_b32 s3, s37, s1
                                        ; implicit-def: $sgpr1
	s_delay_alu instid0(SALU_CYCLE_1) | instskip(NEXT) | instid1(SALU_CYCLE_1)
	s_and_saveexec_b32 s39, s3
	s_xor_b32 s3, exec_lo, s39
	s_cbranch_execz .LBB3_37
; %bb.35:                               ;   in Loop: Header=BB3_34 Depth=2
	s_mov_b32 s1, 0xff800000
	s_and_b32 s38, vcc_lo, exec_lo
	s_or_saveexec_b32 s39, s3
	v_mov_b32_e32 v33, s1
	s_xor_b32 exec_lo, exec_lo, s39
	s_cbranch_execnz .LBB3_38
.LBB3_36:                               ;   in Loop: Header=BB3_34 Depth=2
	s_or_b32 exec_lo, exec_lo, s39
	s_and_saveexec_b32 s3, s38
	s_cbranch_execz .LBB3_33
	s_branch .LBB3_47
.LBB3_37:                               ;   in Loop: Header=BB3_34 Depth=2
	s_or_saveexec_b32 s39, s3
	v_mov_b32_e32 v33, s1
	s_xor_b32 exec_lo, exec_lo, s39
	s_cbranch_execz .LBB3_36
.LBB3_38:                               ;   in Loop: Header=BB3_34 Depth=2
	v_add_co_u32 v33, s1, v27, v7
	s_delay_alu instid0(VALU_DEP_1)
	v_add_co_ci_u32_e64 v34, s1, v28, v8, s1
	v_mov_b32_e32 v35, 0xff800000
	global_load_b32 v33, v[33:34], off
	v_mov_b32_e32 v34, 0xff800000
	s_waitcnt vmcnt(0)
	v_mov_b32_e32 v36, v33
	s_and_saveexec_b32 s3, s0
	s_cbranch_execz .LBB3_42
; %bb.39:                               ;   in Loop: Header=BB3_34 Depth=2
	v_add_co_u32 v35, s1, v23, v7
	s_delay_alu instid0(VALU_DEP_1)
	v_add_co_ci_u32_e64 v36, s1, v24, v8, s1
	s_mov_b32 s40, exec_lo
	global_load_b32 v35, v[35:36], off
	v_mov_b32_e32 v36, v33
	s_waitcnt vmcnt(0)
	v_cmpx_gt_f32_e32 v35, v33
; %bb.40:                               ;   in Loop: Header=BB3_34 Depth=2
	v_mov_b32_e32 v36, v35
; %bb.41:                               ;   in Loop: Header=BB3_34 Depth=2
	s_or_b32 exec_lo, exec_lo, s40
.LBB3_42:                               ;   in Loop: Header=BB3_34 Depth=2
	s_delay_alu instid0(SALU_CYCLE_1)
	s_or_b32 exec_lo, exec_lo, s3
	s_and_saveexec_b32 s3, s36
	s_cbranch_execz .LBB3_46
; %bb.43:                               ;   in Loop: Header=BB3_34 Depth=2
	v_add_co_u32 v37, s1, v25, v7
	s_delay_alu instid0(VALU_DEP_1)
	v_add_co_ci_u32_e64 v38, s1, v26, v8, s1
	s_mov_b32 s40, exec_lo
	global_load_b32 v34, v[37:38], off
	s_waitcnt vmcnt(0)
	v_cmpx_gt_f32_e32 v34, v36
; %bb.44:                               ;   in Loop: Header=BB3_34 Depth=2
	v_mov_b32_e32 v36, v34
; %bb.45:                               ;   in Loop: Header=BB3_34 Depth=2
	s_or_b32 exec_lo, exec_lo, s40
.LBB3_46:                               ;   in Loop: Header=BB3_34 Depth=2
	s_delay_alu instid0(SALU_CYCLE_1) | instskip(SKIP_3) | instid1(VALU_DEP_1)
	s_or_b32 exec_lo, exec_lo, s3
	global_load_b32 v37, v[21:22], off
	v_cmp_neq_f32_e64 s1, 0xff800000, v36
	s_or_b32 s38, s38, exec_lo
	v_cndmask_b32_e64 v36, 0, v36, s1
	s_delay_alu instid0(VALU_DEP_1) | instskip(NEXT) | instid1(VALU_DEP_1)
	v_sub_f32_e32 v34, v34, v36
	v_dual_sub_f32 v33, v33, v36 :: v_dual_mul_f32 v44, 0x3fb8aa3b, v34
	s_delay_alu instid0(VALU_DEP_1) | instskip(SKIP_1) | instid1(VALU_DEP_3)
	v_dual_sub_f32 v35, v35, v36 :: v_dual_mul_f32 v38, 0x3fb8aa3b, v33
	v_cmp_ngt_f32_e64 s1, 0xc2ce8ed0, v33
	v_rndne_f32_e32 v46, v44
	s_delay_alu instid0(VALU_DEP_3) | instskip(NEXT) | instid1(VALU_DEP_4)
	v_rndne_f32_e32 v41, v38
	v_mul_f32_e32 v39, 0x3fb8aa3b, v35
	v_fma_f32 v40, 0x3fb8aa3b, v33, -v38
	s_delay_alu instid0(VALU_DEP_3) | instskip(NEXT) | instid1(VALU_DEP_3)
	v_sub_f32_e32 v38, v38, v41
	v_rndne_f32_e32 v43, v39
	v_fma_f32 v42, 0x3fb8aa3b, v35, -v39
	v_cvt_i32_f32_e32 v41, v41
	s_delay_alu instid0(VALU_DEP_3) | instskip(SKIP_1) | instid1(VALU_DEP_1)
	v_sub_f32_e32 v39, v39, v43
	v_fma_f32 v45, 0x3fb8aa3b, v34, -v44
	v_dual_fmac_f32 v42, 0x32a5705f, v35 :: v_dual_fmac_f32 v45, 0x32a5705f, v34
	s_delay_alu instid0(VALU_DEP_1) | instskip(SKIP_1) | instid1(VALU_DEP_2)
	v_dual_fmac_f32 v40, 0x32a5705f, v33 :: v_dual_add_f32 v39, v39, v42
	v_cvt_i32_f32_e32 v42, v43
	v_add_f32_e32 v38, v38, v40
	s_delay_alu instid0(VALU_DEP_3) | instskip(NEXT) | instid1(VALU_DEP_1)
	v_exp_f32_e32 v39, v39
	v_exp_f32_e32 v38, v38
	s_waitcnt_depctr 0xfff
	v_ldexp_f32 v39, v39, v42
	v_ldexp_f32 v38, v38, v41
	v_cvt_i32_f32_e32 v41, v46
	s_delay_alu instid0(VALU_DEP_2) | instskip(SKIP_1) | instid1(VALU_DEP_1)
	v_cndmask_b32_e64 v38, 0, v38, s1
	v_cmp_ngt_f32_e64 s1, 0xc2ce8ed0, v35
	v_cndmask_b32_e64 v39, 0, v39, s1
	v_cmp_nlt_f32_e64 s1, 0x42b17218, v33
	s_delay_alu instid0(VALU_DEP_1) | instskip(SKIP_1) | instid1(VALU_DEP_1)
	v_cndmask_b32_e64 v33, 0x7f800000, v38, s1
	v_cmp_nlt_f32_e64 s1, 0x42b17218, v35
	v_cndmask_b32_e64 v35, 0x7f800000, v39, s1
	v_cmp_ngt_f32_e64 s1, 0xc2ce8ed0, v34
	s_delay_alu instid0(VALU_DEP_2) | instskip(NEXT) | instid1(VALU_DEP_1)
	v_dual_add_f32 v33, v33, v35 :: v_dual_sub_f32 v40, v44, v46
	v_add_f32_e32 v40, v40, v45
	s_delay_alu instid0(VALU_DEP_1) | instskip(SKIP_2) | instid1(VALU_DEP_1)
	v_exp_f32_e32 v40, v40
	s_waitcnt_depctr 0xfff
	v_ldexp_f32 v40, v40, v41
	v_cndmask_b32_e64 v38, 0, v40, s1
	v_cmp_nlt_f32_e64 s1, 0x42b17218, v34
	s_delay_alu instid0(VALU_DEP_1) | instskip(NEXT) | instid1(VALU_DEP_1)
	v_cndmask_b32_e64 v34, 0x7f800000, v38, s1
	v_add_f32_e32 v33, v34, v33
	s_delay_alu instid0(VALU_DEP_1) | instskip(NEXT) | instid1(VALU_DEP_1)
	v_cmp_gt_f32_e64 s1, 0x800000, v33
	v_cndmask_b32_e64 v34, 1.0, 0x4f800000, s1
	s_delay_alu instid0(VALU_DEP_1) | instskip(NEXT) | instid1(VALU_DEP_1)
	v_mul_f32_e32 v33, v33, v34
	v_log_f32_e32 v33, v33
	s_waitcnt_depctr 0xfff
	v_mul_f32_e32 v34, 0x3f317217, v33
	v_cmp_gt_f32_e64 s3, 0x7f800000, |v33|
	s_delay_alu instid0(VALU_DEP_2) | instskip(NEXT) | instid1(VALU_DEP_1)
	v_fma_f32 v35, 0x3f317217, v33, -v34
	v_fmac_f32_e32 v35, 0x3377d1cf, v33
	s_delay_alu instid0(VALU_DEP_1) | instskip(NEXT) | instid1(VALU_DEP_1)
	v_add_f32_e32 v34, v34, v35
	v_cndmask_b32_e64 v33, v33, v34, s3
	v_cndmask_b32_e64 v34, 0, 0x41b17218, s1
	s_delay_alu instid0(VALU_DEP_1) | instskip(NEXT) | instid1(VALU_DEP_1)
	v_sub_f32_e32 v33, v33, v34
	v_add_f32_e32 v33, v36, v33
	s_waitcnt vmcnt(0)
	s_delay_alu instid0(VALU_DEP_1)
	v_add_f32_e32 v33, v37, v33
	s_or_b32 exec_lo, exec_lo, s39
	s_and_saveexec_b32 s3, s38
	s_cbranch_execz .LBB3_33
.LBB3_47:                               ;   in Loop: Header=BB3_34 Depth=2
	v_add_co_u32 v34, s1, v29, v7
	s_delay_alu instid0(VALU_DEP_1)
	v_add_co_ci_u32_e64 v35, s1, v30, v8, s1
	global_store_b32 v[34:35], v33, off
	s_branch .LBB3_33
.LBB3_48:
	s_mov_b32 s0, exec_lo
	s_waitcnt vmcnt(0)
	s_waitcnt_vscnt null, 0x0
	s_barrier
	buffer_gl0_inv
	v_cmpx_eq_u32_e32 0, v31
	s_cbranch_execz .LBB3_52
; %bb.49:
	v_add_co_u32 v0, vcc_lo, v5, -1
	v_add_co_ci_u32_e32 v5, vcc_lo, -1, v6, vcc_lo
	v_mul_lo_u32 v13, v3, s15
	s_delay_alu instid0(VALU_DEP_3) | instskip(SKIP_1) | instid1(VALU_DEP_4)
	v_mul_lo_u32 v12, v0, s13
	v_mad_u64_u32 v[9:10], null, v0, s12, 0
	v_mul_lo_u32 v11, v5, s12
	v_mul_lo_u32 v0, v4, s14
	v_mad_u64_u32 v[5:6], null, v3, s14, 0
	s_mov_b32 s1, exec_lo
	s_delay_alu instid0(VALU_DEP_3) | instskip(NEXT) | instid1(VALU_DEP_2)
	v_add3_u32 v10, v10, v12, v11
	v_add3_u32 v6, v6, v13, v0
	v_add_co_u32 v0, vcc_lo, s20, v7
	s_delay_alu instid0(VALU_DEP_3) | instskip(SKIP_1) | instid1(VALU_DEP_4)
	v_lshlrev_b64 v[9:10], 2, v[9:10]
	v_add_co_ci_u32_e32 v7, vcc_lo, s21, v8, vcc_lo
	v_lshlrev_b64 v[11:12], 3, v[5:6]
	s_delay_alu instid0(VALU_DEP_3) | instskip(NEXT) | instid1(VALU_DEP_3)
	v_add_co_u32 v8, vcc_lo, v0, v9
	v_add_co_ci_u32_e32 v9, vcc_lo, v7, v10, vcc_lo
	v_mov_b32_e32 v0, 0xff800000
	s_delay_alu instid0(VALU_DEP_3) | instskip(NEXT) | instid1(VALU_DEP_3)
	v_add_co_u32 v10, vcc_lo, v8, v11
	v_add_co_ci_u32_e32 v11, vcc_lo, v9, v12, vcc_lo
	global_load_b32 v7, v[10:11], off
	v_cmpx_lt_i64_e32 0, v[3:4]
	s_cbranch_execz .LBB3_51
; %bb.50:
	v_lshlrev_b64 v[3:4], 1, v[5:6]
	s_delay_alu instid0(VALU_DEP_1) | instskip(NEXT) | instid1(VALU_DEP_2)
	v_sub_co_u32 v3, vcc_lo, v3, s14
	v_subrev_co_ci_u32_e32 v4, vcc_lo, s15, v4, vcc_lo
	s_delay_alu instid0(VALU_DEP_1) | instskip(NEXT) | instid1(VALU_DEP_1)
	v_lshlrev_b64 v[3:4], 2, v[3:4]
	v_add_co_u32 v3, vcc_lo, v8, v3
	s_delay_alu instid0(VALU_DEP_2)
	v_add_co_ci_u32_e32 v4, vcc_lo, v9, v4, vcc_lo
	global_load_b32 v0, v[3:4], off
.LBB3_51:
	s_or_b32 exec_lo, exec_lo, s1
	s_waitcnt vmcnt(0)
	v_cmp_gt_f32_e32 vcc_lo, v7, v0
	v_cndmask_b32_e32 v3, v0, v7, vcc_lo
	s_delay_alu instid0(VALU_DEP_1) | instskip(SKIP_1) | instid1(VALU_DEP_1)
	v_cmp_neq_f32_e32 vcc_lo, 0xff800000, v3
	v_cndmask_b32_e32 v3, 0, v3, vcc_lo
	v_sub_f32_e32 v0, v0, v3
	s_delay_alu instid0(VALU_DEP_1) | instskip(NEXT) | instid1(VALU_DEP_1)
	v_mul_f32_e32 v6, 0x3fb8aa3b, v0
	v_rndne_f32_e32 v10, v6
	v_fma_f32 v9, 0x3fb8aa3b, v0, -v6
	s_delay_alu instid0(VALU_DEP_2) | instskip(SKIP_1) | instid1(VALU_DEP_1)
	v_sub_f32_e32 v6, v6, v10
	v_sub_f32_e32 v4, v7, v3
	v_mul_f32_e32 v5, 0x3fb8aa3b, v4
	s_delay_alu instid0(VALU_DEP_4) | instskip(NEXT) | instid1(VALU_DEP_2)
	v_fmac_f32_e32 v9, 0x32a5705f, v0
	v_fma_f32 v7, 0x3fb8aa3b, v4, -v5
	v_rndne_f32_e32 v8, v5
	s_delay_alu instid0(VALU_DEP_1) | instskip(NEXT) | instid1(VALU_DEP_3)
	v_dual_add_f32 v6, v6, v9 :: v_dual_sub_f32 v5, v5, v8
	v_fmac_f32_e32 v7, 0x32a5705f, v4
	v_cmp_ngt_f32_e32 vcc_lo, 0xc2ce8ed0, v4
	s_delay_alu instid0(VALU_DEP_3) | instskip(NEXT) | instid1(VALU_DEP_2)
	v_exp_f32_e32 v6, v6
	v_add_f32_e32 v5, v5, v7
	v_cvt_i32_f32_e32 v7, v8
	v_cvt_i32_f32_e32 v8, v10
	s_delay_alu instid0(VALU_DEP_3) | instskip(SKIP_3) | instid1(VALU_DEP_1)
	v_exp_f32_e32 v5, v5
	s_waitcnt_depctr 0xfff
	v_ldexp_f32 v6, v6, v8
	v_ldexp_f32 v5, v5, v7
	v_cndmask_b32_e32 v5, 0, v5, vcc_lo
	v_cmp_ngt_f32_e32 vcc_lo, 0xc2ce8ed0, v0
	s_delay_alu instid0(VALU_DEP_4) | instskip(SKIP_1) | instid1(VALU_DEP_4)
	v_cndmask_b32_e32 v6, 0, v6, vcc_lo
	v_cmp_nlt_f32_e32 vcc_lo, 0x42b17218, v4
	v_cndmask_b32_e32 v4, 0x7f800000, v5, vcc_lo
	v_cmp_nlt_f32_e32 vcc_lo, 0x42b17218, v0
	s_delay_alu instid0(VALU_DEP_4) | instskip(NEXT) | instid1(VALU_DEP_1)
	v_cndmask_b32_e32 v0, 0x7f800000, v6, vcc_lo
	v_add_f32_e32 v0, v4, v0
	s_delay_alu instid0(VALU_DEP_1) | instskip(SKIP_1) | instid1(VALU_DEP_1)
	v_cmp_gt_f32_e32 vcc_lo, 0x800000, v0
	v_cndmask_b32_e64 v4, 1.0, 0x4f800000, vcc_lo
	v_mul_f32_e32 v0, v0, v4
	s_delay_alu instid0(VALU_DEP_1) | instskip(SKIP_2) | instid1(VALU_DEP_1)
	v_log_f32_e32 v0, v0
	s_waitcnt_depctr 0xfff
	v_mul_f32_e32 v4, 0x3f317217, v0
	v_fma_f32 v5, 0x3f317217, v0, -v4
	s_delay_alu instid0(VALU_DEP_1) | instskip(NEXT) | instid1(VALU_DEP_1)
	v_fmamk_f32 v5, v0, 0x3377d1cf, v5
	v_add_f32_e32 v4, v4, v5
	v_cndmask_b32_e64 v5, 0, 0x41b17218, vcc_lo
	v_cmp_gt_f32_e64 vcc_lo, 0x7f800000, |v0|
	s_delay_alu instid0(VALU_DEP_3) | instskip(NEXT) | instid1(VALU_DEP_1)
	v_cndmask_b32_e32 v0, v0, v4, vcc_lo
	v_sub_f32_e32 v0, v0, v5
	s_delay_alu instid0(VALU_DEP_1) | instskip(SKIP_1) | instid1(VALU_DEP_2)
	v_add_f32_e32 v3, v3, v0
	v_lshlrev_b64 v[0:1], 2, v[1:2]
	v_xor_b32_e32 v2, 0x80000000, v3
	s_delay_alu instid0(VALU_DEP_2) | instskip(NEXT) | instid1(VALU_DEP_3)
	v_add_co_u32 v0, vcc_lo, s18, v0
	v_add_co_ci_u32_e32 v1, vcc_lo, s19, v1, vcc_lo
	global_store_b32 v[0:1], v2, off
.LBB3_52:
	s_or_b32 exec_lo, exec_lo, s0
                                        ; implicit-def: $vgpr0
                                        ; implicit-def: $vgpr1_vgpr2
                                        ; implicit-def: $vgpr3_vgpr4
.LBB3_53:
	s_and_not1_saveexec_b32 s0, s33
	s_cbranch_execz .LBB3_56
; %bb.54:
	v_and_b32_e32 v0, 0x3ff, v0
	s_delay_alu instid0(VALU_DEP_1)
	v_cmp_eq_u32_e32 vcc_lo, 0, v0
	s_and_b32 exec_lo, exec_lo, vcc_lo
	s_cbranch_execz .LBB3_56
; %bb.55:
	v_lshlrev_b64 v[0:1], 2, v[1:2]
	v_bfrev_b32_e32 v2, 1
	s_delay_alu instid0(VALU_DEP_2) | instskip(NEXT) | instid1(VALU_DEP_3)
	v_add_co_u32 v0, vcc_lo, s18, v0
	v_add_co_ci_u32_e32 v1, vcc_lo, s19, v1, vcc_lo
	s_waitcnt vmcnt(0)
	v_cmp_eq_u64_e32 vcc_lo, 0, v[3:4]
	v_cndmask_b32_e32 v2, 0x7f800000, v2, vcc_lo
	global_store_b32 v[0:1], v2, off
.LBB3_56:
	s_nop 0
	s_sendmsg sendmsg(MSG_DEALLOC_VGPRS)
	s_endpgm
	.section	.rodata,"a",@progbits
	.p2align	6, 0x0
	.amdhsa_kernel _ZN2at6native12_GLOBAL__N_129ctc_loss_log_alpha_gpu_kernelIfiEEvPT_PKS3_PKllPKT0_S8_lS4_llllllS8_lll
		.amdhsa_group_segment_fixed_size 0
		.amdhsa_private_segment_fixed_size 0
		.amdhsa_kernarg_size 400
		.amdhsa_user_sgpr_count 14
		.amdhsa_user_sgpr_dispatch_ptr 0
		.amdhsa_user_sgpr_queue_ptr 0
		.amdhsa_user_sgpr_kernarg_segment_ptr 1
		.amdhsa_user_sgpr_dispatch_id 0
		.amdhsa_user_sgpr_private_segment_size 0
		.amdhsa_wavefront_size32 1
		.amdhsa_uses_dynamic_stack 0
		.amdhsa_enable_private_segment 0
		.amdhsa_system_sgpr_workgroup_id_x 1
		.amdhsa_system_sgpr_workgroup_id_y 1
		.amdhsa_system_sgpr_workgroup_id_z 0
		.amdhsa_system_sgpr_workgroup_info 0
		.amdhsa_system_vgpr_workitem_id 1
		.amdhsa_next_free_vgpr 47
		.amdhsa_next_free_sgpr 41
		.amdhsa_reserve_vcc 1
		.amdhsa_float_round_mode_32 0
		.amdhsa_float_round_mode_16_64 0
		.amdhsa_float_denorm_mode_32 3
		.amdhsa_float_denorm_mode_16_64 3
		.amdhsa_dx10_clamp 1
		.amdhsa_ieee_mode 1
		.amdhsa_fp16_overflow 0
		.amdhsa_workgroup_processor_mode 1
		.amdhsa_memory_ordered 1
		.amdhsa_forward_progress 0
		.amdhsa_shared_vgpr_count 0
		.amdhsa_exception_fp_ieee_invalid_op 0
		.amdhsa_exception_fp_denorm_src 0
		.amdhsa_exception_fp_ieee_div_zero 0
		.amdhsa_exception_fp_ieee_overflow 0
		.amdhsa_exception_fp_ieee_underflow 0
		.amdhsa_exception_fp_ieee_inexact 0
		.amdhsa_exception_int_div_zero 0
	.end_amdhsa_kernel
	.section	.text._ZN2at6native12_GLOBAL__N_129ctc_loss_log_alpha_gpu_kernelIfiEEvPT_PKS3_PKllPKT0_S8_lS4_llllllS8_lll,"axG",@progbits,_ZN2at6native12_GLOBAL__N_129ctc_loss_log_alpha_gpu_kernelIfiEEvPT_PKS3_PKllPKT0_S8_lS4_llllllS8_lll,comdat
.Lfunc_end3:
	.size	_ZN2at6native12_GLOBAL__N_129ctc_loss_log_alpha_gpu_kernelIfiEEvPT_PKS3_PKllPKT0_S8_lS4_llllllS8_lll, .Lfunc_end3-_ZN2at6native12_GLOBAL__N_129ctc_loss_log_alpha_gpu_kernelIfiEEvPT_PKS3_PKllPKT0_S8_lS4_llllllS8_lll
                                        ; -- End function
	.section	.AMDGPU.csdata,"",@progbits
; Kernel info:
; codeLenInByte = 3628
; NumSgprs: 43
; NumVgprs: 47
; ScratchSize: 0
; MemoryBound: 0
; FloatMode: 240
; IeeeMode: 1
; LDSByteSize: 0 bytes/workgroup (compile time only)
; SGPRBlocks: 5
; VGPRBlocks: 5
; NumSGPRsForWavesPerEU: 43
; NumVGPRsForWavesPerEU: 47
; Occupancy: 16
; WaveLimiterHint : 1
; COMPUTE_PGM_RSRC2:SCRATCH_EN: 0
; COMPUTE_PGM_RSRC2:USER_SGPR: 14
; COMPUTE_PGM_RSRC2:TRAP_HANDLER: 0
; COMPUTE_PGM_RSRC2:TGID_X_EN: 1
; COMPUTE_PGM_RSRC2:TGID_Y_EN: 1
; COMPUTE_PGM_RSRC2:TGID_Z_EN: 0
; COMPUTE_PGM_RSRC2:TIDIG_COMP_CNT: 1
	.section	.text._ZN2at6native12_GLOBAL__N_137ctc_loss_backward_log_beta_gpu_kernelIdlEEvPT_PKS3_PKllPKT0_S8_lllllllS8_lll,"axG",@progbits,_ZN2at6native12_GLOBAL__N_137ctc_loss_backward_log_beta_gpu_kernelIdlEEvPT_PKS3_PKllPKT0_S8_lllllllS8_lll,comdat
	.globl	_ZN2at6native12_GLOBAL__N_137ctc_loss_backward_log_beta_gpu_kernelIdlEEvPT_PKS3_PKllPKT0_S8_lllllllS8_lll ; -- Begin function _ZN2at6native12_GLOBAL__N_137ctc_loss_backward_log_beta_gpu_kernelIdlEEvPT_PKS3_PKllPKT0_S8_lllllllS8_lll
	.p2align	8
	.type	_ZN2at6native12_GLOBAL__N_137ctc_loss_backward_log_beta_gpu_kernelIdlEEvPT_PKS3_PKllPKT0_S8_lllllllS8_lll,@function
_ZN2at6native12_GLOBAL__N_137ctc_loss_backward_log_beta_gpu_kernelIdlEEvPT_PKS3_PKllPKT0_S8_lllllllS8_lll: ; @_ZN2at6native12_GLOBAL__N_137ctc_loss_backward_log_beta_gpu_kernelIdlEEvPT_PKS3_PKllPKT0_S8_lllllllS8_lll
; %bb.0:
	s_clause 0x1
	s_load_b32 s4, s[0:1], 0x94
	s_load_b128 s[20:23], s[0:1], 0x70
	v_bfe_u32 v1, v0, 10, 10
	s_add_u32 s2, s0, 0x88
	s_addc_u32 s3, s1, 0
	s_waitcnt lgkmcnt(0)
	s_lshr_b32 s4, s4, 16
	s_delay_alu instid0(SALU_CYCLE_1) | instskip(SKIP_2) | instid1(VALU_DEP_1)
	v_mad_u64_u32 v[11:12], null, s15, s4, v[1:2]
	v_mov_b32_e32 v12, 0
	s_mov_b32 s4, exec_lo
	v_cmpx_gt_i64_e64 s[22:23], v[11:12]
	s_cbranch_execz .LBB4_43
; %bb.1:
	s_load_b64 s[4:5], s[0:1], 0x10
	v_lshlrev_b64 v[3:4], 3, v[11:12]
	s_waitcnt lgkmcnt(0)
	s_delay_alu instid0(VALU_DEP_1) | instskip(NEXT) | instid1(VALU_DEP_2)
	v_add_co_u32 v1, vcc_lo, s4, v3
	v_add_co_ci_u32_e32 v2, vcc_lo, s5, v4, vcc_lo
	global_load_b64 v[1:2], v[1:2], off
	s_waitcnt vmcnt(0)
	v_cmp_ne_u64_e32 vcc_lo, 0, v[1:2]
	s_and_b32 exec_lo, exec_lo, vcc_lo
	s_cbranch_execz .LBB4_43
; %bb.2:
	s_clause 0x1
	s_load_b64 s[4:5], s[0:1], 0x28
	s_load_b64 s[6:7], s[0:1], 0x68
	s_waitcnt lgkmcnt(0)
	v_add_co_u32 v5, vcc_lo, s4, v3
	v_add_co_ci_u32_e32 v6, vcc_lo, s5, v4, vcc_lo
	v_add_co_u32 v3, vcc_lo, s6, v3
	v_add_co_ci_u32_e32 v4, vcc_lo, s7, v4, vcc_lo
	global_load_b64 v[13:14], v[5:6], off
	global_load_b64 v[5:6], v[3:4], off
	s_load_b256 s[4:11], s[0:1], 0x30
	s_load_b32 s2, s[2:3], 0xc
	s_waitcnt lgkmcnt(0)
	s_lshl_b64 s[22:23], s[4:5], 1
	s_mov_b32 s4, 0
	s_mov_b32 s5, s23
	s_and_b32 s33, s2, 0xffff
	s_cmp_lg_u64 s[4:5], 0
	s_cbranch_scc0 .LBB4_44
; %bb.3:
	v_cvt_f32_ubyte0_e32 v3, 0
	v_cvt_f32_u32_e32 v4, s33
	s_sub_u32 s5, 0, s33
	s_subb_u32 s12, 0, 0
	s_delay_alu instid0(VALU_DEP_1) | instskip(NEXT) | instid1(VALU_DEP_1)
	v_fmamk_f32 v3, v3, 0x4f800000, v4
	v_rcp_f32_e32 v3, v3
	s_waitcnt_depctr 0xfff
	v_mul_f32_e32 v3, 0x5f7ffffc, v3
	s_delay_alu instid0(VALU_DEP_1) | instskip(NEXT) | instid1(VALU_DEP_1)
	v_mul_f32_e32 v4, 0x2f800000, v3
	v_trunc_f32_e32 v4, v4
	s_delay_alu instid0(VALU_DEP_1) | instskip(SKIP_1) | instid1(VALU_DEP_2)
	v_fmamk_f32 v3, v4, 0xcf800000, v3
	v_cvt_u32_f32_e32 v4, v4
	v_cvt_u32_f32_e32 v3, v3
	s_delay_alu instid0(VALU_DEP_2) | instskip(NEXT) | instid1(VALU_DEP_2)
	v_readfirstlane_b32 s2, v4
	v_readfirstlane_b32 s3, v3
	s_delay_alu instid0(VALU_DEP_2) | instskip(NEXT) | instid1(VALU_DEP_1)
	s_mul_i32 s13, s5, s2
	s_mul_hi_u32 s15, s5, s3
	s_mul_i32 s14, s12, s3
	s_add_i32 s13, s15, s13
	s_mul_i32 s16, s5, s3
	s_add_i32 s13, s13, s14
	s_mul_hi_u32 s15, s3, s16
	s_mul_hi_u32 s17, s2, s16
	s_mul_i32 s14, s2, s16
	s_mul_hi_u32 s16, s3, s13
	s_mul_i32 s3, s3, s13
	s_mul_hi_u32 s18, s2, s13
	s_add_u32 s3, s15, s3
	s_addc_u32 s15, 0, s16
	s_add_u32 s3, s3, s14
	s_mul_i32 s13, s2, s13
	s_addc_u32 s3, s15, s17
	s_addc_u32 s14, s18, 0
	s_add_u32 s3, s3, s13
	s_addc_u32 s13, 0, s14
	v_add_co_u32 v3, s3, v3, s3
	s_delay_alu instid0(VALU_DEP_1) | instskip(SKIP_1) | instid1(VALU_DEP_1)
	s_cmp_lg_u32 s3, 0
	s_addc_u32 s2, s2, s13
	v_readfirstlane_b32 s3, v3
	s_mul_i32 s13, s5, s2
	s_delay_alu instid0(VALU_DEP_1)
	s_mul_hi_u32 s14, s5, s3
	s_mul_i32 s12, s12, s3
	s_add_i32 s13, s14, s13
	s_mul_i32 s5, s5, s3
	s_add_i32 s13, s13, s12
	s_mul_hi_u32 s14, s2, s5
	s_mul_i32 s15, s2, s5
	s_mul_hi_u32 s5, s3, s5
	s_mul_hi_u32 s16, s3, s13
	s_mul_i32 s3, s3, s13
	s_mul_hi_u32 s12, s2, s13
	s_add_u32 s3, s5, s3
	s_addc_u32 s5, 0, s16
	s_add_u32 s3, s3, s15
	s_mul_i32 s13, s2, s13
	s_addc_u32 s3, s5, s14
	s_addc_u32 s5, s12, 0
	s_add_u32 s3, s3, s13
	s_addc_u32 s5, 0, s5
	v_add_co_u32 v3, s3, v3, s3
	s_delay_alu instid0(VALU_DEP_1) | instskip(SKIP_2) | instid1(VALU_DEP_1)
	s_cmp_lg_u32 s3, 0
	s_addc_u32 s5, s2, s5
	s_ashr_i32 s12, s23, 31
	v_readfirstlane_b32 s14, v3
	s_add_u32 s2, s22, s12
	s_mov_b32 s13, s12
	s_addc_u32 s3, s23, s12
	s_delay_alu instid0(SALU_CYCLE_1) | instskip(NEXT) | instid1(SALU_CYCLE_1)
	s_xor_b64 s[2:3], s[2:3], s[12:13]
	s_mul_i32 s15, s2, s5
	s_mul_hi_u32 s16, s2, s14
	s_mul_hi_u32 s13, s2, s5
	;; [unrolled: 1-line block ×3, first 2 shown]
	s_mul_i32 s14, s3, s14
	s_add_u32 s15, s16, s15
	s_addc_u32 s13, 0, s13
	s_mul_hi_u32 s17, s3, s5
	s_add_u32 s14, s15, s14
	s_mul_i32 s5, s3, s5
	s_addc_u32 s13, s13, s18
	s_addc_u32 s14, s17, 0
	s_add_u32 s5, s13, s5
	s_addc_u32 s13, 0, s14
	s_mul_hi_u32 s14, s33, s5
	s_mul_i32 s5, s33, s5
	s_mul_i32 s13, s33, s13
	v_sub_co_u32 v3, s2, s2, s5
	s_add_i32 s14, s14, s13
	s_cmp_lg_u32 s2, 0
	s_delay_alu instid0(VALU_DEP_1) | instskip(SKIP_2) | instid1(VALU_DEP_1)
	v_sub_co_u32 v4, s2, v3, s33
	s_subb_u32 s3, s3, s14
	s_cmp_lg_u32 s2, 0
	v_cmp_le_u32_e32 vcc_lo, s33, v4
	v_sub_co_u32 v7, s2, v4, s33
	s_subb_u32 s5, s3, 0
	s_cmp_lg_u32 s2, 0
	v_cndmask_b32_e64 v8, 0, -1, vcc_lo
	s_subb_u32 s2, s5, 0
	s_cmp_eq_u32 s5, 0
	v_mov_b32_e32 v10, s2
	s_cselect_b32 vcc_lo, -1, 0
	s_cmp_eq_u32 s3, 0
	v_cndmask_b32_e32 v8, -1, v8, vcc_lo
	v_cmp_le_u32_e32 vcc_lo, s33, v3
	s_cselect_b32 s2, -1, 0
	v_cndmask_b32_e64 v9, 0, -1, vcc_lo
	s_delay_alu instid0(VALU_DEP_3) | instskip(NEXT) | instid1(VALU_DEP_2)
	v_cmp_ne_u32_e32 vcc_lo, 0, v8
	v_cndmask_b32_e64 v8, -1, v9, s2
	v_cndmask_b32_e32 v9, s5, v10, vcc_lo
	v_cndmask_b32_e32 v4, v4, v7, vcc_lo
	s_delay_alu instid0(VALU_DEP_3) | instskip(NEXT) | instid1(VALU_DEP_2)
	v_cmp_ne_u32_e32 vcc_lo, 0, v8
	v_cndmask_b32_e32 v3, v3, v4, vcc_lo
	s_delay_alu instid0(VALU_DEP_4) | instskip(NEXT) | instid1(VALU_DEP_2)
	v_cndmask_b32_e32 v7, s3, v9, vcc_lo
	v_xor_b32_e32 v3, s12, v3
	s_delay_alu instid0(VALU_DEP_2) | instskip(NEXT) | instid1(VALU_DEP_2)
	v_xor_b32_e32 v4, s12, v7
	v_sub_co_u32 v15, vcc_lo, v3, s12
	s_delay_alu instid0(VALU_DEP_2)
	v_subrev_co_ci_u32_e32 v16, vcc_lo, s12, v4, vcc_lo
	s_and_not1_b32 vcc_lo, exec_lo, s4
	s_cbranch_vccnz .LBB4_5
.LBB4_4:
	v_cvt_f32_u32_e32 v3, s33
	s_sub_i32 s3, 0, s33
	s_delay_alu instid0(VALU_DEP_1) | instskip(SKIP_2) | instid1(VALU_DEP_1)
	v_rcp_iflag_f32_e32 v3, v3
	s_waitcnt_depctr 0xfff
	v_mul_f32_e32 v3, 0x4f7ffffe, v3
	v_cvt_u32_f32_e32 v3, v3
	s_delay_alu instid0(VALU_DEP_1) | instskip(NEXT) | instid1(VALU_DEP_1)
	v_readfirstlane_b32 s2, v3
	s_mul_i32 s3, s3, s2
	s_delay_alu instid0(SALU_CYCLE_1) | instskip(NEXT) | instid1(SALU_CYCLE_1)
	s_mul_hi_u32 s3, s2, s3
	s_add_i32 s2, s2, s3
	s_delay_alu instid0(SALU_CYCLE_1) | instskip(NEXT) | instid1(SALU_CYCLE_1)
	s_mul_hi_u32 s2, s22, s2
	s_mul_i32 s2, s2, s33
	s_delay_alu instid0(SALU_CYCLE_1) | instskip(NEXT) | instid1(SALU_CYCLE_1)
	s_sub_i32 s2, s22, s2
	s_sub_i32 s3, s2, s33
	s_cmp_ge_u32 s2, s33
	s_cselect_b32 s2, s3, s2
	s_mov_b32 s3, 0
	s_sub_i32 s4, s2, s33
	s_cmp_ge_u32 s2, s33
	s_cselect_b32 s2, s4, s2
	s_delay_alu instid0(SALU_CYCLE_1)
	v_dual_mov_b32 v16, s3 :: v_dual_mov_b32 v15, s2
.LBB4_5:
	s_delay_alu instid0(VALU_DEP_1) | instskip(NEXT) | instid1(VALU_DEP_2)
	v_sub_co_u32 v3, vcc_lo, s22, v15
	v_sub_co_ci_u32_e32 v4, vcc_lo, s23, v16, vcc_lo
	s_delay_alu instid0(VALU_DEP_1)
	v_cmp_gt_i64_e32 vcc_lo, 0, v[3:4]
	s_cbranch_vccnz .LBB4_43
; %bb.6:
	v_mad_u64_u32 v[17:18], null, v11, s8, 0
	s_clause 0x3
	s_load_b64 s[28:29], s[0:1], 0x80
	s_load_b256 s[12:19], s[0:1], 0x50
	s_load_b128 s[24:27], s[0:1], 0x0
	s_load_b64 s[2:3], s[0:1], 0x20
	s_waitcnt vmcnt(0)
	v_lshlrev_b64 v[19:20], 3, v[5:6]
	v_lshlrev_b64 v[5:6], 1, v[13:14]
	v_dual_mov_b32 v7, v18 :: v_dual_and_b32 v0, 0x3ff, v0
	s_delay_alu instid0(VALU_DEP_1) | instskip(SKIP_3) | instid1(VALU_DEP_4)
	v_mad_u64_u32 v[21:22], null, v11, s9, v[7:8]
	v_add_co_u32 v7, vcc_lo, v1, -1
	v_add_co_ci_u32_e32 v8, vcc_lo, -1, v2, vcc_lo
	v_add_co_u32 v9, vcc_lo, v5, -1
	v_mov_b32_e32 v18, v21
	s_delay_alu instid0(VALU_DEP_3)
	v_mul_lo_u32 v12, v8, s6
	v_mul_lo_u32 v24, v7, s7
	v_mad_u64_u32 v[22:23], null, v7, s6, 0
	v_add_co_ci_u32_e32 v10, vcc_lo, -1, v6, vcc_lo
	s_waitcnt lgkmcnt(0)
	v_add_co_u32 v43, vcc_lo, s2, v19
	v_add_co_ci_u32_e32 v44, vcc_lo, s3, v20, vcc_lo
	s_delay_alu instid0(VALU_DEP_4) | instskip(SKIP_1) | instid1(VALU_DEP_1)
	v_add3_u32 v23, v23, v24, v12
	v_add_co_u32 v12, s2, s22, v0
	v_add_co_ci_u32_e64 v19, null, s23, 0, s2
	v_alignbit_b32 v21, v10, v9, 1
	s_delay_alu instid0(VALU_DEP_3) | instskip(SKIP_1) | instid1(VALU_DEP_4)
	v_sub_co_u32 v15, vcc_lo, v12, v15
	v_lshrrev_b32_e32 v20, 1, v10
	v_sub_co_ci_u32_e32 v16, vcc_lo, v19, v16, vcc_lo
	v_mad_u64_u32 v[26:27], null, s12, v11, 0
	v_mul_lo_u32 v30, v21, s21
	v_mad_u64_u32 v[24:25], null, v21, s20, 0
	v_mul_lo_u32 v31, v20, s20
	v_mul_lo_u32 v32, s17, v15
	;; [unrolled: 1-line block ×3, first 2 shown]
	v_mad_u64_u32 v[19:20], null, s16, v15, 0
	v_mul_lo_u32 v34, s15, v7
	v_mul_lo_u32 v35, s14, v8
	v_mad_u64_u32 v[28:29], null, s14, v7, 0
	v_mov_b32_e32 v12, v27
	v_lshlrev_b64 v[17:18], 3, v[17:18]
	v_add3_u32 v20, v20, v33, v32
	v_add3_u32 v25, v25, v30, v31
	v_lshlrev_b64 v[21:22], 3, v[22:23]
	v_mad_u64_u32 v[30:31], null, s13, v11, v[12:13]
	v_add3_u32 v29, v29, v35, v34
	v_add_co_u32 v36, vcc_lo, s26, v17
	v_add_co_ci_u32_e32 v37, vcc_lo, s27, v18, vcc_lo
	v_lshlrev_b64 v[19:20], 3, v[19:20]
	s_delay_alu instid0(VALU_DEP_4) | instskip(NEXT) | instid1(VALU_DEP_4)
	v_lshlrev_b64 v[11:12], 3, v[28:29]
	v_add_co_u32 v35, vcc_lo, v36, v21
	v_mov_b32_e32 v27, v30
	v_add_co_ci_u32_e32 v36, vcc_lo, v37, v22, vcc_lo
	v_lshlrev_b64 v[21:22], 3, v[24:25]
	v_add_co_u32 v23, vcc_lo, v19, v11
	v_add_co_ci_u32_e32 v24, vcc_lo, v20, v12, vcc_lo
	v_lshlrev_b64 v[11:12], 3, v[26:27]
	s_delay_alu instid0(VALU_DEP_4) | instskip(SKIP_2) | instid1(VALU_DEP_3)
	v_add_co_u32 v21, vcc_lo, v43, v21
	v_add_co_ci_u32_e32 v22, vcc_lo, v44, v22, vcc_lo
	s_mul_i32 s2, s17, s33
	v_add_co_u32 v23, vcc_lo, v23, v11
	s_delay_alu instid0(VALU_DEP_4) | instskip(SKIP_1) | instid1(VALU_DEP_2)
	v_add_co_ci_u32_e32 v24, vcc_lo, v24, v12, vcc_lo
	s_mul_hi_u32 s3, s16, s33
	v_add_co_u32 v23, vcc_lo, s24, v23
	s_delay_alu instid0(VALU_DEP_2) | instskip(SKIP_4) | instid1(VALU_DEP_2)
	v_add_co_ci_u32_e32 v24, vcc_lo, s25, v24, vcc_lo
	v_sub_co_u32 v25, vcc_lo, v5, v0
	v_subrev_co_ci_u32_e32 v26, vcc_lo, 0, v6, vcc_lo
	s_add_i32 s3, s3, s2
	s_mul_i32 s2, s16, s33
	v_add_co_u32 v27, vcc_lo, v25, -1
	s_lshl_b64 s[2:3], s[2:3], 3
	v_add_co_ci_u32_e32 v28, vcc_lo, -1, v26, vcc_lo
	v_dual_mov_b32 v30, v4 :: v_dual_mov_b32 v29, v3
	s_sub_u32 s70, 0, s2
	s_subb_u32 s71, 0, s3
	s_branch .LBB4_8
.LBB4_7:                                ;   in Loop: Header=BB4_8 Depth=1
	s_or_b32 exec_lo, exec_lo, s2
	v_sub_co_u32 v29, vcc_lo, v29, s33
	v_subrev_co_ci_u32_e32 v30, vcc_lo, 0, v30, vcc_lo
	v_add_co_u32 v23, s2, v23, s70
	s_delay_alu instid0(VALU_DEP_1) | instskip(NEXT) | instid1(VALU_DEP_3)
	v_add_co_ci_u32_e64 v24, s2, s71, v24, s2
	v_cmp_gt_i64_e32 vcc_lo, 0, v[29:30]
	s_cbranch_vccnz .LBB4_16
.LBB4_8:                                ; =>This Inner Loop Header: Depth=1
	v_dual_mov_b32 v32, s29 :: v_dual_mov_b32 v31, s28
	s_mov_b32 s5, -1
	s_mov_b32 s4, exec_lo
                                        ; implicit-def: $sgpr2_sgpr3
	v_cmpx_ne_u64_e64 v[25:26], v[29:30]
	s_cbranch_execz .LBB4_12
; %bb.9:                                ;   in Loop: Header=BB4_8 Depth=1
	s_mov_b32 s5, 0
	s_mov_b32 s2, exec_lo
                                        ; implicit-def: $vgpr31_vgpr32
	v_cmpx_eq_u64_e64 v[27:28], v[29:30]
	s_cbranch_execz .LBB4_11
; %bb.10:                               ;   in Loop: Header=BB4_8 Depth=1
	global_load_b64 v[31:32], v[21:22], off
	s_mov_b32 s5, exec_lo
.LBB4_11:                               ;   in Loop: Header=BB4_8 Depth=1
	s_or_b32 exec_lo, exec_lo, s2
	s_mov_b32 s2, 0
	s_mov_b32 s3, 0xfff00000
	s_or_not1_b32 s5, s5, exec_lo
.LBB4_12:                               ;   in Loop: Header=BB4_8 Depth=1
	s_or_b32 exec_lo, exec_lo, s4
	v_dual_mov_b32 v34, s3 :: v_dual_mov_b32 v33, s2
	s_and_saveexec_b32 s2, s5
	s_cbranch_execz .LBB4_14
; %bb.13:                               ;   in Loop: Header=BB4_8 Depth=1
	s_waitcnt vmcnt(0)
	v_mul_lo_u32 v34, v32, s10
	v_mul_lo_u32 v37, v31, s11
	v_mad_u64_u32 v[32:33], null, v31, s10, 0
	s_delay_alu instid0(VALU_DEP_1) | instskip(NEXT) | instid1(VALU_DEP_1)
	v_add3_u32 v33, v33, v37, v34
	v_lshlrev_b64 v[31:32], 3, v[32:33]
	s_delay_alu instid0(VALU_DEP_1) | instskip(NEXT) | instid1(VALU_DEP_2)
	v_add_co_u32 v31, vcc_lo, v35, v31
	v_add_co_ci_u32_e32 v32, vcc_lo, v36, v32, vcc_lo
	global_load_b64 v[33:34], v[31:32], off
.LBB4_14:                               ;   in Loop: Header=BB4_8 Depth=1
	s_or_b32 exec_lo, exec_lo, s2
	s_waitcnt vmcnt(0)
	v_add_co_u32 v31, vcc_lo, v0, v29
	v_add_co_ci_u32_e32 v32, vcc_lo, 0, v30, vcc_lo
	s_mov_b32 s2, exec_lo
	s_delay_alu instid0(VALU_DEP_1)
	v_cmpx_ge_i64_e64 s[22:23], v[31:32]
	s_cbranch_execz .LBB4_7
; %bb.15:                               ;   in Loop: Header=BB4_8 Depth=1
	global_store_b64 v[23:24], v[33:34], off
	s_branch .LBB4_7
.LBB4_16:
	s_load_b64 s[2:3], s[0:1], 0x18
	v_add_co_u32 v21, vcc_lo, v15, 2
	v_add_co_ci_u32_e32 v22, vcc_lo, 0, v16, vcc_lo
	v_cmp_lt_i64_e64 s0, 0, v[13:14]
	v_cmp_ne_u64_e64 s1, 0, v[13:14]
	v_lshlrev_b64 v[13:14], 3, v[15:16]
	v_mul_lo_u32 v23, s17, v21
	v_mul_lo_u32 v22, s16, v22
	v_mad_u64_u32 v[15:16], null, s16, v21, 0
	s_mov_b32 s34, 0x7c89e6b0
	s_delay_alu instid0(VALU_DEP_4) | instskip(SKIP_2) | instid1(VALU_DEP_3)
	v_add_co_u32 v24, vcc_lo, v13, 8
	v_add_co_ci_u32_e32 v13, vcc_lo, 0, v14, vcc_lo
	s_mov_b32 s36, 0x14761f6e
	v_add3_u32 v16, v16, v22, v23
	s_delay_alu instid0(VALU_DEP_3)
	v_mul_lo_u32 v23, s17, v24
	s_waitcnt lgkmcnt(0)
	s_add_u32 s12, s2, -2
	s_addc_u32 s13, s3, -1
	s_mul_hi_u32 s4, s14, s12
	s_mul_i32 s5, s14, s13
	s_mul_i32 s8, s15, s12
	s_add_i32 s5, s4, s5
	s_mul_i32 s4, s14, s12
	s_add_i32 s5, s5, s8
	s_mul_hi_u32 s8, s6, s12
	s_lshl_b64 s[4:5], s[4:5], 3
	s_mul_i32 s30, s6, s13
	s_add_u32 s18, s24, s4
	s_addc_u32 s19, s25, s5
	s_lshl_b64 s[4:5], s[14:15], 3
	s_mul_i32 s9, s7, s12
	s_sub_u32 s72, 0, s4
	s_subb_u32 s73, 0, s5
	s_add_i32 s5, s8, s30
	s_mul_i32 s4, s6, s12
	s_add_i32 s5, s5, s9
	v_lshlrev_b64 v[21:22], 3, v[15:16]
	s_lshl_b64 s[4:5], s[4:5], 3
	v_add_co_u32 v15, vcc_lo, s18, v19
	s_add_u32 s8, s26, s4
	s_addc_u32 s9, s27, s5
	s_lshl_b64 s[4:5], s[6:7], 3
	s_lshl_b64 s[10:11], s[10:11], 3
	s_sub_u32 s74, 0, s4
	s_subb_u32 s75, 0, s5
	s_add_u32 s4, s2, -1
	s_addc_u32 s5, s3, -1
	s_mul_hi_u32 s6, s14, s4
	s_mul_i32 s5, s14, s5
	s_mul_i32 s7, s15, s4
	s_add_i32 s5, s6, s5
	s_mul_i32 s4, s14, s4
	s_add_i32 s5, s5, s7
	v_add_co_ci_u32_e32 v16, vcc_lo, s19, v20, vcc_lo
	s_lshl_b64 s[4:5], s[4:5], 3
	v_mul_lo_u32 v25, s16, v13
	s_add_u32 s4, s24, s4
	s_addc_u32 s5, s25, s5
	v_add_co_u32 v17, vcc_lo, s8, v17
	v_mad_u64_u32 v[13:14], null, s16, v24, s[4:5]
	v_add_co_ci_u32_e32 v18, vcc_lo, s9, v18, vcc_lo
	v_add_co_u32 v19, vcc_lo, s4, v19
	v_add_co_ci_u32_e32 v20, vcc_lo, s5, v20, vcc_lo
	v_add_co_u32 v21, vcc_lo, s4, v21
	v_cmp_gt_i64_e64 s76, s[2:3], 1
	v_add3_u32 v14, v23, v14, v25
	v_add_co_ci_u32_e32 v22, vcc_lo, s5, v22, vcc_lo
	v_mov_b32_e32 v23, 0
	s_mov_b32 s14, 0x652b82fe
	s_mov_b32 s16, 0xfefa39ef
	;; [unrolled: 1-line block ×41, first 2 shown]
	s_branch .LBB4_18
.LBB4_17:                               ;   in Loop: Header=BB4_18 Depth=1
	v_sub_co_u32 v3, vcc_lo, v3, s33
	v_subrev_co_ci_u32_e32 v4, vcc_lo, 0, v4, vcc_lo
	v_add_co_u32 v15, vcc_lo, v15, s70
	v_add_co_ci_u32_e32 v16, vcc_lo, s71, v16, vcc_lo
	v_add_co_u32 v13, vcc_lo, v13, s70
	v_add_co_u32 v19, s2, v19, s70
	v_add_co_ci_u32_e32 v14, vcc_lo, s71, v14, vcc_lo
	v_cmp_gt_i64_e32 vcc_lo, 0, v[3:4]
	v_add_co_ci_u32_e64 v20, s2, s71, v20, s2
	v_add_co_u32 v21, s2, v21, s70
	s_delay_alu instid0(VALU_DEP_1)
	v_add_co_ci_u32_e64 v22, s2, s71, v22, s2
	s_cbranch_vccnz .LBB4_43
.LBB4_18:                               ; =>This Loop Header: Depth=1
                                        ;     Child Loop BB4_29 Depth 2
	v_add_co_u32 v27, vcc_lo, v3, v0
	v_add_co_ci_u32_e32 v28, vcc_lo, 0, v4, vcc_lo
	s_waitcnt vmcnt(0)
	v_dual_mov_b32 v30, s29 :: v_dual_mov_b32 v29, s28
	s_mov_b32 s77, 0
	s_delay_alu instid0(VALU_DEP_2) | instskip(NEXT) | instid1(VALU_DEP_1)
	v_cmp_le_i64_e64 s2, v[27:28], v[5:6]
	s_and_b32 s3, s0, s2
	s_delay_alu instid0(SALU_CYCLE_1)
	s_and_saveexec_b32 s4, s3
	s_cbranch_execz .LBB4_26
; %bb.19:                               ;   in Loop: Header=BB4_18 Depth=1
	v_and_b32_e32 v24, 1, v27
	v_dual_mov_b32 v30, s29 :: v_dual_mov_b32 v29, s28
	s_delay_alu instid0(VALU_DEP_2)
	v_cmp_eq_u32_e32 vcc_lo, 1, v24
	s_and_saveexec_b32 s5, vcc_lo
	s_cbranch_execz .LBB4_21
; %bb.20:                               ;   in Loop: Header=BB4_18 Depth=1
	v_alignbit_b32 v26, v28, v27, 1
	v_lshrrev_b32_e32 v29, 1, v28
	s_delay_alu instid0(VALU_DEP_2) | instskip(SKIP_1) | instid1(VALU_DEP_3)
	v_mul_lo_u32 v30, v26, s21
	v_mad_u64_u32 v[24:25], null, v26, s20, 0
	v_mul_lo_u32 v26, v29, s20
	s_delay_alu instid0(VALU_DEP_1) | instskip(NEXT) | instid1(VALU_DEP_1)
	v_add3_u32 v25, v25, v30, v26
	v_lshlrev_b64 v[24:25], 3, v[24:25]
	s_delay_alu instid0(VALU_DEP_1) | instskip(NEXT) | instid1(VALU_DEP_1)
	v_add_co_u32 v24, s3, v43, v24
	v_add_co_ci_u32_e64 v25, s3, v44, v25, s3
	global_load_b64 v[29:30], v[24:25], off
.LBB4_21:                               ;   in Loop: Header=BB4_18 Depth=1
	s_or_b32 exec_lo, exec_lo, s5
	s_mov_b32 s6, 0
	s_mov_b32 s5, exec_lo
	v_cmpx_lt_i64_e64 v[27:28], v[9:10]
	s_cbranch_execz .LBB4_25
; %bb.22:                               ;   in Loop: Header=BB4_18 Depth=1
	v_dual_mov_b32 v24, s28 :: v_dual_mov_b32 v25, s29
	s_and_saveexec_b32 s3, vcc_lo
	s_cbranch_execz .LBB4_24
; %bb.23:                               ;   in Loop: Header=BB4_18 Depth=1
	v_add_co_u32 v24, vcc_lo, v27, 2
	v_add_co_ci_u32_e32 v25, vcc_lo, 0, v28, vcc_lo
	s_delay_alu instid0(VALU_DEP_1) | instskip(SKIP_1) | instid1(VALU_DEP_2)
	v_alignbit_b32 v26, v25, v24, 1
	v_lshrrev_b32_e32 v31, 1, v25
	v_mul_lo_u32 v32, v26, s21
	v_mad_u64_u32 v[24:25], null, v26, s20, 0
	s_delay_alu instid0(VALU_DEP_3) | instskip(NEXT) | instid1(VALU_DEP_1)
	v_mul_lo_u32 v26, v31, s20
	v_add3_u32 v25, v25, v32, v26
	s_delay_alu instid0(VALU_DEP_1) | instskip(NEXT) | instid1(VALU_DEP_1)
	v_lshlrev_b64 v[24:25], 3, v[24:25]
	v_add_co_u32 v24, vcc_lo, v43, v24
	s_delay_alu instid0(VALU_DEP_2)
	v_add_co_ci_u32_e32 v25, vcc_lo, v44, v25, vcc_lo
	global_load_b64 v[24:25], v[24:25], off
.LBB4_24:                               ;   in Loop: Header=BB4_18 Depth=1
	s_or_b32 exec_lo, exec_lo, s3
	s_waitcnt vmcnt(0)
	v_cmp_ne_u64_e32 vcc_lo, v[24:25], v[29:30]
	s_and_b32 s6, vcc_lo, exec_lo
.LBB4_25:                               ;   in Loop: Header=BB4_18 Depth=1
	s_or_b32 exec_lo, exec_lo, s5
	s_delay_alu instid0(SALU_CYCLE_1)
	s_and_b32 s77, s6, exec_lo
.LBB4_26:                               ;   in Loop: Header=BB4_18 Depth=1
	s_or_b32 exec_lo, exec_lo, s4
	s_delay_alu instid0(SALU_CYCLE_1)
	s_and_not1_b32 vcc_lo, exec_lo, s76
	s_cbranch_vccnz .LBB4_17
; %bb.27:                               ;   in Loop: Header=BB4_18 Depth=1
	s_waitcnt vmcnt(0)
	v_mad_u64_u32 v[25:26], null, s10, v29, v[17:18]
	v_mul_lo_u32 v24, s10, v30
	v_mul_lo_u32 v29, s11, v29
	v_cmp_gt_i64_e64 s4, 1, v[27:28]
	v_cmp_lt_i64_e32 vcc_lo, s[22:23], v[27:28]
	v_cmp_lt_i64_e64 s3, v[27:28], v[5:6]
	v_dual_mov_b32 v28, v22 :: v_dual_mov_b32 v27, v21
	v_dual_mov_b32 v32, v14 :: v_dual_mov_b32 v31, v13
	v_add3_u32 v26, v29, v26, v24
	v_dual_mov_b32 v30, v20 :: v_dual_mov_b32 v29, v19
	v_dual_mov_b32 v34, v16 :: v_dual_mov_b32 v33, v15
	s_or_b32 s78, s1, s4
	s_xor_b32 s79, s2, -1
	s_mov_b64 s[68:69], s[12:13]
	s_branch .LBB4_29
.LBB4_28:                               ;   in Loop: Header=BB4_29 Depth=2
	s_or_b32 exec_lo, exec_lo, s5
	v_add_co_u32 v33, s4, v33, s72
	s_delay_alu instid0(VALU_DEP_1) | instskip(SKIP_1) | instid1(VALU_DEP_1)
	v_add_co_ci_u32_e64 v34, s4, s73, v34, s4
	v_add_co_u32 v25, s4, v25, s74
	v_add_co_ci_u32_e64 v26, s4, s75, v26, s4
	v_add_co_u32 v31, s4, v31, s72
	s_delay_alu instid0(VALU_DEP_1) | instskip(SKIP_1) | instid1(VALU_DEP_1)
	v_add_co_ci_u32_e64 v32, s4, s73, v32, s4
	v_add_co_u32 v29, s4, v29, s72
	v_add_co_ci_u32_e64 v30, s4, s73, v30, s4
	v_add_co_u32 v27, s4, v27, s72
	s_add_u32 s68, s68, -1
	v_add_co_ci_u32_e64 v28, s4, s73, v28, s4
	s_addc_u32 s69, s69, -1
	s_delay_alu instid0(SALU_CYCLE_1)
	s_cmp_eq_u64 s[68:69], -1
	s_cbranch_scc1 .LBB4_17
.LBB4_29:                               ;   Parent Loop BB4_18 Depth=1
                                        ; =>  This Inner Loop Header: Depth=2
	v_cmp_ge_i64_e64 s4, s[68:69], v[7:8]
	s_mov_b32 s80, 0
	s_waitcnt_vscnt null, 0x0
	s_barrier
	buffer_gl0_inv
	s_or_b32 s6, s79, s4
                                        ; implicit-def: $sgpr4_sgpr5
	s_delay_alu instid0(SALU_CYCLE_1) | instskip(NEXT) | instid1(SALU_CYCLE_1)
	s_and_saveexec_b32 s7, s6
	s_xor_b32 s6, exec_lo, s7
; %bb.30:                               ;   in Loop: Header=BB4_29 Depth=2
	v_cmp_lt_i64_e64 s4, s[68:69], v[1:2]
	s_delay_alu instid0(VALU_DEP_1) | instskip(NEXT) | instid1(SALU_CYCLE_1)
	s_and_b32 s4, s78, s4
	s_and_b32 s4, s4, s2
	s_delay_alu instid0(SALU_CYCLE_1)
	s_or_b32 s7, vcc_lo, s4
	s_mov_b32 s4, 0
	s_xor_b32 s7, s7, -1
	s_mov_b32 s5, 0xfff00000
	s_and_b32 s80, s7, exec_lo
; %bb.31:                               ;   in Loop: Header=BB4_29 Depth=2
	s_or_saveexec_b32 s81, s6
	v_dual_mov_b32 v36, s5 :: v_dual_mov_b32 v35, s4
	s_xor_b32 exec_lo, exec_lo, s81
	s_cbranch_execz .LBB4_41
; %bb.32:                               ;   in Loop: Header=BB4_29 Depth=2
	v_add_co_u32 v35, s4, v29, v11
	s_delay_alu instid0(VALU_DEP_1)
	v_add_co_ci_u32_e64 v36, s4, v30, v12, s4
	global_load_b64 v[39:40], v[35:36], off
	v_mov_b32_e32 v35, 0
	v_mov_b32_e32 v36, 0xfff00000
	s_waitcnt vmcnt(0)
	v_dual_mov_b32 v42, v40 :: v_dual_mov_b32 v41, v39
	s_delay_alu instid0(VALU_DEP_2)
	v_dual_mov_b32 v38, v36 :: v_dual_mov_b32 v37, v35
	s_and_saveexec_b32 s5, s3
	s_cbranch_execz .LBB4_36
; %bb.33:                               ;   in Loop: Header=BB4_29 Depth=2
	v_add_co_u32 v37, s4, v31, v11
	s_delay_alu instid0(VALU_DEP_1)
	v_add_co_ci_u32_e64 v38, s4, v32, v12, s4
	v_dual_mov_b32 v42, v40 :: v_dual_mov_b32 v41, v39
	s_mov_b32 s6, exec_lo
	global_load_b64 v[37:38], v[37:38], off
	s_waitcnt vmcnt(0)
	v_cmpx_gt_f64_e32 v[37:38], v[39:40]
; %bb.34:                               ;   in Loop: Header=BB4_29 Depth=2
	v_dual_mov_b32 v42, v38 :: v_dual_mov_b32 v41, v37
; %bb.35:                               ;   in Loop: Header=BB4_29 Depth=2
	s_or_b32 exec_lo, exec_lo, s6
.LBB4_36:                               ;   in Loop: Header=BB4_29 Depth=2
	s_delay_alu instid0(SALU_CYCLE_1)
	s_or_b32 exec_lo, exec_lo, s5
	s_and_saveexec_b32 s5, s77
	s_cbranch_execz .LBB4_40
; %bb.37:                               ;   in Loop: Header=BB4_29 Depth=2
	v_add_co_u32 v35, s4, v27, v11
	s_delay_alu instid0(VALU_DEP_1)
	v_add_co_ci_u32_e64 v36, s4, v28, v12, s4
	s_mov_b32 s6, exec_lo
	global_load_b64 v[35:36], v[35:36], off
	s_waitcnt vmcnt(0)
	v_cmpx_gt_f64_e32 v[35:36], v[41:42]
; %bb.38:                               ;   in Loop: Header=BB4_29 Depth=2
	v_dual_mov_b32 v42, v36 :: v_dual_mov_b32 v41, v35
; %bb.39:                               ;   in Loop: Header=BB4_29 Depth=2
	s_or_b32 exec_lo, exec_lo, s6
.LBB4_40:                               ;   in Loop: Header=BB4_29 Depth=2
	s_delay_alu instid0(SALU_CYCLE_1) | instskip(NEXT) | instid1(VALU_DEP_1)
	s_or_b32 exec_lo, exec_lo, s5
	v_cmp_neq_f64_e64 s4, 0xfff00000, v[41:42]
	s_mov_b32 s63, s49
	s_mov_b32 s64, s16
	;; [unrolled: 1-line block ×3, first 2 shown]
	s_or_b32 s80, s80, exec_lo
	s_delay_alu instid0(VALU_DEP_1) | instskip(SKIP_1) | instid1(VALU_DEP_1)
	v_cndmask_b32_e64 v42, 0, v42, s4
	v_cndmask_b32_e64 v41, 0, v41, s4
	v_add_f64 v[39:40], v[39:40], -v[41:42]
	v_add_f64 v[37:38], v[37:38], -v[41:42]
	;; [unrolled: 1-line block ×3, first 2 shown]
	s_delay_alu instid0(VALU_DEP_3) | instskip(NEXT) | instid1(VALU_DEP_3)
	v_mul_f64 v[45:46], v[39:40], s[14:15]
	v_mul_f64 v[47:48], v[37:38], s[14:15]
	s_delay_alu instid0(VALU_DEP_3)
	v_mul_f64 v[49:50], v[35:36], s[14:15]
	v_cmp_nlt_f64_e64 s4, 0x40900000, v[39:40]
	v_cmp_nlt_f64_e64 s6, 0x40900000, v[37:38]
	v_cmp_ngt_f64_e64 s5, 0xc090cc00, v[39:40]
	v_cmp_ngt_f64_e64 s7, 0xc090cc00, v[37:38]
	v_cmp_nlt_f64_e64 s8, 0x40900000, v[35:36]
	v_cmp_ngt_f64_e64 s9, 0xc090cc00, v[35:36]
	v_rndne_f64_e32 v[45:46], v[45:46]
	v_rndne_f64_e32 v[47:48], v[47:48]
	v_rndne_f64_e32 v[49:50], v[49:50]
	s_delay_alu instid0(VALU_DEP_3) | instskip(NEXT) | instid1(VALU_DEP_3)
	v_fma_f64 v[51:52], v[45:46], s[16:17], v[39:40]
	v_fma_f64 v[53:54], v[47:48], s[16:17], v[37:38]
	s_delay_alu instid0(VALU_DEP_3) | instskip(SKIP_1) | instid1(VALU_DEP_4)
	v_fma_f64 v[55:56], v[49:50], s[16:17], v[35:36]
	v_cvt_i32_f64_e32 v24, v[45:46]
	v_fma_f64 v[51:52], v[45:46], s[18:19], v[51:52]
	s_delay_alu instid0(VALU_DEP_4) | instskip(NEXT) | instid1(VALU_DEP_4)
	v_fma_f64 v[53:54], v[47:48], s[18:19], v[53:54]
	v_fma_f64 v[55:56], v[49:50], s[18:19], v[55:56]
	s_delay_alu instid0(VALU_DEP_3) | instskip(NEXT) | instid1(VALU_DEP_3)
	v_fma_f64 v[57:58], v[51:52], s[26:27], s[24:25]
	v_fma_f64 v[59:60], v[53:54], s[26:27], s[24:25]
	s_delay_alu instid0(VALU_DEP_3) | instskip(NEXT) | instid1(VALU_DEP_3)
	;; [unrolled: 3-line block ×14, first 2 shown]
	v_fma_f64 v[61:62], v[55:56], v[61:62], s[46:47]
	v_fma_f64 v[57:58], v[51:52], v[57:58], 1.0
	s_delay_alu instid0(VALU_DEP_3) | instskip(NEXT) | instid1(VALU_DEP_3)
	v_fma_f64 v[59:60], v[53:54], v[59:60], 1.0
	v_fma_f64 v[61:62], v[55:56], v[61:62], 1.0
	s_delay_alu instid0(VALU_DEP_3) | instskip(SKIP_1) | instid1(VALU_DEP_4)
	v_fma_f64 v[45:46], v[51:52], v[57:58], 1.0
	v_cvt_i32_f64_e32 v51, v[47:48]
	v_fma_f64 v[47:48], v[53:54], v[59:60], 1.0
	v_cvt_i32_f64_e32 v52, v[49:50]
	v_fma_f64 v[49:50], v[55:56], v[61:62], 1.0
	v_ldexp_f64 v[45:46], v[45:46], v24
	s_delay_alu instid0(VALU_DEP_4) | instskip(NEXT) | instid1(VALU_DEP_3)
	v_ldexp_f64 v[47:48], v[47:48], v51
	v_ldexp_f64 v[49:50], v[49:50], v52
	s_delay_alu instid0(VALU_DEP_3) | instskip(SKIP_1) | instid1(VALU_DEP_3)
	v_cndmask_b32_e64 v24, 0x7ff00000, v46, s4
	s_and_b32 s4, s5, s4
	v_cndmask_b32_e64 v39, 0x7ff00000, v48, s6
	v_cndmask_b32_e64 v35, 0, v45, s4
	s_and_b32 s4, s7, s6
	v_cndmask_b32_e64 v36, 0, v24, s5
	v_cndmask_b32_e64 v37, 0, v47, s4
	;; [unrolled: 1-line block ×4, first 2 shown]
	s_and_b32 s4, s9, s8
	s_delay_alu instid0(VALU_DEP_2) | instskip(NEXT) | instid1(VALU_DEP_2)
	v_add_f64 v[35:36], v[35:36], v[37:38]
	v_cndmask_b32_e64 v38, 0, v40, s9
	v_cndmask_b32_e64 v37, 0, v49, s4
	s_delay_alu instid0(VALU_DEP_1) | instskip(NEXT) | instid1(VALU_DEP_1)
	v_add_f64 v[35:36], v[37:38], v[35:36]
	v_frexp_mant_f64_e32 v[37:38], v[35:36]
	s_delay_alu instid0(VALU_DEP_1) | instskip(NEXT) | instid1(VALU_DEP_1)
	v_cmp_gt_f64_e64 s4, s[48:49], v[37:38]
	v_cndmask_b32_e64 v24, 0x3ff00000, 2.0, s4
	s_delay_alu instid0(VALU_DEP_1) | instskip(SKIP_1) | instid1(VALU_DEP_2)
	v_mul_f64 v[37:38], v[37:38], v[23:24]
	v_frexp_exp_i32_f64_e32 v24, v[35:36]
	v_add_f64 v[39:40], v[37:38], 1.0
	v_add_f64 v[49:50], v[37:38], -1.0
	s_delay_alu instid0(VALU_DEP_3) | instskip(SKIP_1) | instid1(VALU_DEP_4)
	v_subrev_co_ci_u32_e64 v24, s4, 0, v24, s4
	v_cmp_class_f64_e64 s4, v[35:36], 0x204
	v_rcp_f64_e32 v[45:46], v[39:40]
	v_add_f64 v[51:52], v[39:40], -1.0
	s_delay_alu instid0(VALU_DEP_1) | instskip(SKIP_2) | instid1(VALU_DEP_1)
	v_add_f64 v[37:38], v[37:38], -v[51:52]
	s_waitcnt_depctr 0xfff
	v_fma_f64 v[47:48], -v[39:40], v[45:46], 1.0
	v_fma_f64 v[45:46], v[47:48], v[45:46], v[45:46]
	s_delay_alu instid0(VALU_DEP_1) | instskip(NEXT) | instid1(VALU_DEP_1)
	v_fma_f64 v[47:48], -v[39:40], v[45:46], 1.0
	v_fma_f64 v[45:46], v[47:48], v[45:46], v[45:46]
	s_delay_alu instid0(VALU_DEP_1) | instskip(NEXT) | instid1(VALU_DEP_1)
	v_mul_f64 v[47:48], v[49:50], v[45:46]
	v_mul_f64 v[53:54], v[39:40], v[47:48]
	s_delay_alu instid0(VALU_DEP_1) | instskip(NEXT) | instid1(VALU_DEP_1)
	v_fma_f64 v[39:40], v[47:48], v[39:40], -v[53:54]
	v_fma_f64 v[37:38], v[47:48], v[37:38], v[39:40]
	s_delay_alu instid0(VALU_DEP_1) | instskip(NEXT) | instid1(VALU_DEP_1)
	v_add_f64 v[39:40], v[53:54], v[37:38]
	v_add_f64 v[51:52], v[49:50], -v[39:40]
	v_add_f64 v[53:54], v[39:40], -v[53:54]
	s_delay_alu instid0(VALU_DEP_2) | instskip(NEXT) | instid1(VALU_DEP_2)
	v_add_f64 v[49:50], v[49:50], -v[51:52]
	v_add_f64 v[37:38], v[53:54], -v[37:38]
	s_delay_alu instid0(VALU_DEP_2) | instskip(NEXT) | instid1(VALU_DEP_1)
	v_add_f64 v[39:40], v[49:50], -v[39:40]
	v_add_f64 v[37:38], v[37:38], v[39:40]
	s_delay_alu instid0(VALU_DEP_1) | instskip(NEXT) | instid1(VALU_DEP_1)
	v_add_f64 v[37:38], v[51:52], v[37:38]
	v_mul_f64 v[37:38], v[45:46], v[37:38]
	s_delay_alu instid0(VALU_DEP_1) | instskip(NEXT) | instid1(VALU_DEP_1)
	v_add_f64 v[39:40], v[47:48], v[37:38]
	v_mul_f64 v[45:46], v[39:40], v[39:40]
	s_delay_alu instid0(VALU_DEP_1) | instskip(SKIP_1) | instid1(VALU_DEP_2)
	v_fma_f64 v[49:50], v[45:46], s[52:53], s[50:51]
	v_mul_f64 v[51:52], v[39:40], v[45:46]
	v_fma_f64 v[49:50], v[45:46], v[49:50], s[54:55]
	s_delay_alu instid0(VALU_DEP_1) | instskip(NEXT) | instid1(VALU_DEP_1)
	v_fma_f64 v[49:50], v[45:46], v[49:50], s[56:57]
	v_fma_f64 v[49:50], v[45:46], v[49:50], s[58:59]
	s_delay_alu instid0(VALU_DEP_1) | instskip(NEXT) | instid1(VALU_DEP_1)
	v_fma_f64 v[49:50], v[45:46], v[49:50], s[60:61]
	v_fma_f64 v[45:46], v[45:46], v[49:50], s[62:63]
	v_ldexp_f64 v[49:50], v[39:40], 1
	v_add_f64 v[39:40], v[39:40], -v[47:48]
	s_delay_alu instid0(VALU_DEP_3) | instskip(SKIP_1) | instid1(VALU_DEP_3)
	v_mul_f64 v[45:46], v[51:52], v[45:46]
	v_cvt_f64_i32_e32 v[51:52], v24
	v_add_f64 v[37:38], v[37:38], -v[39:40]
	s_delay_alu instid0(VALU_DEP_3) | instskip(NEXT) | instid1(VALU_DEP_3)
	v_add_f64 v[47:48], v[49:50], v[45:46]
	v_mul_f64 v[53:54], v[51:52], s[64:65]
	s_delay_alu instid0(VALU_DEP_3) | instskip(NEXT) | instid1(VALU_DEP_3)
	v_ldexp_f64 v[37:38], v[37:38], 1
	v_add_f64 v[39:40], v[47:48], -v[49:50]
	s_delay_alu instid0(VALU_DEP_3) | instskip(NEXT) | instid1(VALU_DEP_2)
	v_fma_f64 v[49:50], v[51:52], s[64:65], -v[53:54]
	v_add_f64 v[39:40], v[45:46], -v[39:40]
	s_delay_alu instid0(VALU_DEP_2) | instskip(NEXT) | instid1(VALU_DEP_2)
	v_fma_f64 v[45:46], v[51:52], s[66:67], v[49:50]
	v_add_f64 v[37:38], v[37:38], v[39:40]
	s_delay_alu instid0(VALU_DEP_2) | instskip(NEXT) | instid1(VALU_DEP_2)
	v_add_f64 v[39:40], v[53:54], v[45:46]
	v_add_f64 v[49:50], v[47:48], v[37:38]
	s_delay_alu instid0(VALU_DEP_2) | instskip(NEXT) | instid1(VALU_DEP_2)
	v_add_f64 v[53:54], v[39:40], -v[53:54]
	v_add_f64 v[51:52], v[39:40], v[49:50]
	v_add_f64 v[47:48], v[49:50], -v[47:48]
	s_delay_alu instid0(VALU_DEP_3) | instskip(NEXT) | instid1(VALU_DEP_3)
	v_add_f64 v[45:46], v[45:46], -v[53:54]
	v_add_f64 v[55:56], v[51:52], -v[39:40]
	s_delay_alu instid0(VALU_DEP_3) | instskip(NEXT) | instid1(VALU_DEP_2)
	v_add_f64 v[37:38], v[37:38], -v[47:48]
	v_add_f64 v[57:58], v[51:52], -v[55:56]
	;; [unrolled: 1-line block ×3, first 2 shown]
	s_delay_alu instid0(VALU_DEP_3) | instskip(SKIP_2) | instid1(VALU_DEP_1)
	v_add_f64 v[53:54], v[45:46], v[37:38]
	global_load_b64 v[49:50], v[25:26], off
	v_add_f64 v[39:40], v[39:40], -v[57:58]
	v_add_f64 v[39:40], v[47:48], v[39:40]
	v_add_f64 v[47:48], v[53:54], -v[45:46]
	s_delay_alu instid0(VALU_DEP_2) | instskip(NEXT) | instid1(VALU_DEP_2)
	v_add_f64 v[39:40], v[53:54], v[39:40]
	v_add_f64 v[53:54], v[53:54], -v[47:48]
	v_add_f64 v[37:38], v[37:38], -v[47:48]
	s_delay_alu instid0(VALU_DEP_3) | instskip(NEXT) | instid1(VALU_DEP_3)
	v_add_f64 v[55:56], v[51:52], v[39:40]
	v_add_f64 v[45:46], v[45:46], -v[53:54]
	s_delay_alu instid0(VALU_DEP_2) | instskip(NEXT) | instid1(VALU_DEP_2)
	v_add_f64 v[47:48], v[55:56], -v[51:52]
	v_add_f64 v[37:38], v[37:38], v[45:46]
	s_delay_alu instid0(VALU_DEP_2) | instskip(NEXT) | instid1(VALU_DEP_1)
	v_add_f64 v[39:40], v[39:40], -v[47:48]
	v_add_f64 v[37:38], v[37:38], v[39:40]
	s_delay_alu instid0(VALU_DEP_1) | instskip(NEXT) | instid1(VALU_DEP_1)
	v_add_f64 v[37:38], v[55:56], v[37:38]
	v_cndmask_b32_e64 v24, v37, v35, s4
	s_delay_alu instid0(VALU_DEP_2) | instskip(SKIP_1) | instid1(VALU_DEP_1)
	v_cndmask_b32_e64 v37, v38, v36, s4
	v_cmp_ngt_f64_e64 s4, 0, v[35:36]
	v_cndmask_b32_e64 v38, 0x7ff80000, v37, s4
	v_cmp_nge_f64_e64 s4, 0, v[35:36]
	s_delay_alu instid0(VALU_DEP_1) | instskip(SKIP_1) | instid1(VALU_DEP_1)
	v_cndmask_b32_e64 v37, 0, v24, s4
	v_cmp_neq_f64_e64 s4, 0, v[35:36]
	v_cndmask_b32_e64 v38, 0xfff00000, v38, s4
	s_delay_alu instid0(VALU_DEP_1) | instskip(SKIP_1) | instid1(VALU_DEP_1)
	v_add_f64 v[35:36], v[41:42], v[37:38]
	s_waitcnt vmcnt(0)
	v_add_f64 v[35:36], v[49:50], v[35:36]
.LBB4_41:                               ;   in Loop: Header=BB4_29 Depth=2
	s_or_b32 exec_lo, exec_lo, s81
	s_and_saveexec_b32 s5, s80
	s_cbranch_execz .LBB4_28
; %bb.42:                               ;   in Loop: Header=BB4_29 Depth=2
	v_add_co_u32 v37, s4, v33, v11
	s_delay_alu instid0(VALU_DEP_1)
	v_add_co_ci_u32_e64 v38, s4, v34, v12, s4
	global_store_b64 v[37:38], v[35:36], off
	s_branch .LBB4_28
.LBB4_43:
	s_nop 0
	s_sendmsg sendmsg(MSG_DEALLOC_VGPRS)
	s_endpgm
.LBB4_44:
                                        ; implicit-def: $vgpr15_vgpr16
	s_branch .LBB4_4
	.section	.rodata,"a",@progbits
	.p2align	6, 0x0
	.amdhsa_kernel _ZN2at6native12_GLOBAL__N_137ctc_loss_backward_log_beta_gpu_kernelIdlEEvPT_PKS3_PKllPKT0_S8_lllllllS8_lll
		.amdhsa_group_segment_fixed_size 0
		.amdhsa_private_segment_fixed_size 0
		.amdhsa_kernarg_size 392
		.amdhsa_user_sgpr_count 14
		.amdhsa_user_sgpr_dispatch_ptr 0
		.amdhsa_user_sgpr_queue_ptr 0
		.amdhsa_user_sgpr_kernarg_segment_ptr 1
		.amdhsa_user_sgpr_dispatch_id 0
		.amdhsa_user_sgpr_private_segment_size 0
		.amdhsa_wavefront_size32 1
		.amdhsa_uses_dynamic_stack 0
		.amdhsa_enable_private_segment 0
		.amdhsa_system_sgpr_workgroup_id_x 1
		.amdhsa_system_sgpr_workgroup_id_y 1
		.amdhsa_system_sgpr_workgroup_id_z 0
		.amdhsa_system_sgpr_workgroup_info 0
		.amdhsa_system_vgpr_workitem_id 1
		.amdhsa_next_free_vgpr 63
		.amdhsa_next_free_sgpr 82
		.amdhsa_reserve_vcc 1
		.amdhsa_float_round_mode_32 0
		.amdhsa_float_round_mode_16_64 0
		.amdhsa_float_denorm_mode_32 3
		.amdhsa_float_denorm_mode_16_64 3
		.amdhsa_dx10_clamp 1
		.amdhsa_ieee_mode 1
		.amdhsa_fp16_overflow 0
		.amdhsa_workgroup_processor_mode 1
		.amdhsa_memory_ordered 1
		.amdhsa_forward_progress 0
		.amdhsa_shared_vgpr_count 0
		.amdhsa_exception_fp_ieee_invalid_op 0
		.amdhsa_exception_fp_denorm_src 0
		.amdhsa_exception_fp_ieee_div_zero 0
		.amdhsa_exception_fp_ieee_overflow 0
		.amdhsa_exception_fp_ieee_underflow 0
		.amdhsa_exception_fp_ieee_inexact 0
		.amdhsa_exception_int_div_zero 0
	.end_amdhsa_kernel
	.section	.text._ZN2at6native12_GLOBAL__N_137ctc_loss_backward_log_beta_gpu_kernelIdlEEvPT_PKS3_PKllPKT0_S8_lllllllS8_lll,"axG",@progbits,_ZN2at6native12_GLOBAL__N_137ctc_loss_backward_log_beta_gpu_kernelIdlEEvPT_PKS3_PKllPKT0_S8_lllllllS8_lll,comdat
.Lfunc_end4:
	.size	_ZN2at6native12_GLOBAL__N_137ctc_loss_backward_log_beta_gpu_kernelIdlEEvPT_PKS3_PKllPKT0_S8_lllllllS8_lll, .Lfunc_end4-_ZN2at6native12_GLOBAL__N_137ctc_loss_backward_log_beta_gpu_kernelIdlEEvPT_PKS3_PKllPKT0_S8_lllllllS8_lll
                                        ; -- End function
	.section	.AMDGPU.csdata,"",@progbits
; Kernel info:
; codeLenInByte = 5080
; NumSgprs: 84
; NumVgprs: 63
; ScratchSize: 0
; MemoryBound: 0
; FloatMode: 240
; IeeeMode: 1
; LDSByteSize: 0 bytes/workgroup (compile time only)
; SGPRBlocks: 10
; VGPRBlocks: 7
; NumSGPRsForWavesPerEU: 84
; NumVGPRsForWavesPerEU: 63
; Occupancy: 14
; WaveLimiterHint : 1
; COMPUTE_PGM_RSRC2:SCRATCH_EN: 0
; COMPUTE_PGM_RSRC2:USER_SGPR: 14
; COMPUTE_PGM_RSRC2:TRAP_HANDLER: 0
; COMPUTE_PGM_RSRC2:TGID_X_EN: 1
; COMPUTE_PGM_RSRC2:TGID_Y_EN: 1
; COMPUTE_PGM_RSRC2:TGID_Z_EN: 0
; COMPUTE_PGM_RSRC2:TIDIG_COMP_CNT: 1
	.section	.text._ZN2at6native12_GLOBAL__N_145ctc_loss_backward_collect_nonblank_gpu_kernelIdlEEvPT_PKS3_lS6_S6_S6_PKlPKT0_S8_S6_llllllllllllS8_llb,"axG",@progbits,_ZN2at6native12_GLOBAL__N_145ctc_loss_backward_collect_nonblank_gpu_kernelIdlEEvPT_PKS3_lS6_S6_S6_PKlPKT0_S8_S6_llllllllllllS8_llb,comdat
	.globl	_ZN2at6native12_GLOBAL__N_145ctc_loss_backward_collect_nonblank_gpu_kernelIdlEEvPT_PKS3_lS6_S6_S6_PKlPKT0_S8_S6_llllllllllllS8_llb ; -- Begin function _ZN2at6native12_GLOBAL__N_145ctc_loss_backward_collect_nonblank_gpu_kernelIdlEEvPT_PKS3_lS6_S6_S6_PKlPKT0_S8_S6_llllllllllllS8_llb
	.p2align	8
	.type	_ZN2at6native12_GLOBAL__N_145ctc_loss_backward_collect_nonblank_gpu_kernelIdlEEvPT_PKS3_lS6_S6_S6_PKlPKT0_S8_S6_llllllllllllS8_llb,@function
_ZN2at6native12_GLOBAL__N_145ctc_loss_backward_collect_nonblank_gpu_kernelIdlEEvPT_PKS3_lS6_S6_S6_PKlPKT0_S8_S6_llllllllllllS8_llb: ; @_ZN2at6native12_GLOBAL__N_145ctc_loss_backward_collect_nonblank_gpu_kernelIdlEEvPT_PKS3_lS6_S6_S6_PKlPKT0_S8_S6_llllllllllllS8_llb
; %bb.0:
	s_clause 0x1
	s_load_b32 s2, s[0:1], 0xdc
	s_load_b128 s[4:7], s[0:1], 0xb8
	v_bfe_u32 v3, v0, 10, 10
	s_waitcnt lgkmcnt(0)
	s_lshr_b32 s3, s2, 16
	s_delay_alu instid0(VALU_DEP_1) | instid1(SALU_CYCLE_1)
	v_mad_u64_u32 v[1:2], null, s15, s3, v[3:4]
	v_mov_b32_e32 v2, 0
	s_mov_b32 s3, exec_lo
	s_delay_alu instid0(VALU_DEP_1)
	v_cmpx_gt_i64_e64 s[6:7], v[1:2]
	s_cbranch_execz .LBB5_7
; %bb.1:
	s_load_b64 s[6:7], s[0:1], 0x40
	v_lshlrev_b64 v[8:9], 3, v[1:2]
	v_dual_mov_b32 v7, v2 :: v_dual_and_b32 v6, 0x3ff, v0
	s_and_b32 s2, s2, 0xffff
	s_waitcnt lgkmcnt(0)
	s_delay_alu instid0(VALU_DEP_2) | instskip(NEXT) | instid1(VALU_DEP_3)
	v_add_co_u32 v3, vcc_lo, s6, v8
	v_add_co_ci_u32_e32 v4, vcc_lo, s7, v9, vcc_lo
	global_load_b64 v[4:5], v[3:4], off
	v_mad_u64_u32 v[2:3], null, s2, s14, v[6:7]
	s_waitcnt vmcnt(0)
	s_delay_alu instid0(VALU_DEP_1)
	v_cmp_lt_i64_e32 vcc_lo, v[2:3], v[4:5]
	s_and_b32 exec_lo, exec_lo, vcc_lo
	s_cbranch_execz .LBB5_7
; %bb.2:
	s_clause 0x2
	s_load_b64 s[2:3], s[0:1], 0x48
	s_load_b32 s8, s[0:1], 0xc8
	s_load_b64 s[6:7], s[0:1], 0x30
	s_mov_b64 s[34:35], 0
	s_waitcnt lgkmcnt(0)
	v_add_co_u32 v4, vcc_lo, s2, v8
	v_add_co_ci_u32_e32 v5, vcc_lo, s3, v9, vcc_lo
	v_add_co_u32 v6, vcc_lo, s6, v8
	v_add_co_ci_u32_e32 v7, vcc_lo, s7, v9, vcc_lo
	global_load_b64 v[4:5], v[4:5], off
	s_bitcmp1_b32 s8, 0
	global_load_b64 v[6:7], v[6:7], off
	s_cselect_b32 s3, -1, 0
	s_delay_alu instid0(SALU_CYCLE_1)
	s_xor_b32 s3, s3, -1
	s_waitcnt vmcnt(1)
	v_cmp_neq_f64_e32 vcc_lo, 0x7ff00000, v[4:5]
	s_waitcnt vmcnt(0)
	v_cmp_lt_i64_e64 s2, 0, v[6:7]
	s_or_b32 s3, s3, vcc_lo
	s_delay_alu instid0(VALU_DEP_1) | instid1(SALU_CYCLE_1)
	s_and_b32 s2, s3, s2
	s_delay_alu instid0(SALU_CYCLE_1)
	s_and_b32 exec_lo, exec_lo, s2
	s_cbranch_execz .LBB5_7
; %bb.3:
	s_load_b64 s[2:3], s[0:1], 0xb0
	v_mul_lo_u32 v0, v3, s4
	v_mul_lo_u32 v12, v2, s5
	v_mad_u64_u32 v[10:11], null, v2, s4, 0
	s_load_b256 s[36:43], s[0:1], 0x0
	v_lshlrev_b64 v[2:3], 1, v[2:3]
	s_mov_b32 s44, 0xfca7ab0c
	s_mov_b32 s46, 0x6a5dcb37
	;; [unrolled: 1-line block ×4, first 2 shown]
	s_delay_alu instid0(VALU_DEP_2)
	v_add3_u32 v11, v11, v12, v0
	s_mov_b32 s52, 0x14761f6e
	s_mov_b32 s54, 0x1852b7b0
	;; [unrolled: 1-line block ×4, first 2 shown]
	v_lshlrev_b64 v[10:11], 3, v[10:11]
	s_mov_b32 s60, 0x55555511
	s_mov_b32 s45, 0x3e928af3
	;; [unrolled: 1-line block ×3, first 2 shown]
	s_waitcnt lgkmcnt(0)
	v_add_co_u32 v8, vcc_lo, s2, v8
	v_add_co_ci_u32_e32 v9, vcc_lo, s3, v9, vcc_lo
	s_load_b64 s[2:3], s[0:1], 0x38
	s_mov_b32 s49, 0x3ec71dee
	s_mov_b32 s51, 0x3efa0199
	global_load_b64 v[8:9], v[8:9], off
	s_mov_b32 s53, 0x3f2a01a0
	s_mov_b32 s55, 0x3f56c16c
	;; [unrolled: 1-line block ×5, first 2 shown]
	s_waitcnt vmcnt(0)
	v_lshlrev_b64 v[8:9], 3, v[8:9]
	s_waitcnt lgkmcnt(0)
	s_delay_alu instid0(VALU_DEP_1) | instskip(NEXT) | instid1(VALU_DEP_2)
	v_add_co_u32 v0, vcc_lo, s2, v8
	v_add_co_ci_u32_e32 v9, vcc_lo, s3, v9, vcc_lo
	s_mov_b32 s2, 0x652b82fe
	s_delay_alu instid0(VALU_DEP_2) | instskip(NEXT) | instid1(VALU_DEP_2)
	v_add_co_u32 v8, vcc_lo, v0, v10
	v_add_co_ci_u32_e32 v9, vcc_lo, v9, v11, vcc_lo
	s_mov_b32 s3, 0x3ff71547
	global_load_b64 v[10:11], v[8:9], off
	v_mad_u64_u32 v[8:9], null, v1, s40, 0
	s_delay_alu instid0(VALU_DEP_1) | instskip(NEXT) | instid1(VALU_DEP_1)
	v_mov_b32_e32 v0, v9
	v_mad_u64_u32 v[12:13], null, v1, s41, v[0:1]
	v_or_b32_e32 v0, 1, v2
	s_mov_b32 s40, 0x3b39803f
	s_mov_b32 s41, 0xbc7abc9e
	s_delay_alu instid0(VALU_DEP_2) | instskip(NEXT) | instid1(VALU_DEP_1)
	v_mov_b32_e32 v9, v12
	v_lshlrev_b64 v[8:9], 3, v[8:9]
	s_delay_alu instid0(VALU_DEP_1) | instskip(NEXT) | instid1(VALU_DEP_2)
	v_add_co_u32 v8, vcc_lo, s38, v8
	v_add_co_ci_u32_e32 v9, vcc_lo, s39, v9, vcc_lo
	s_mov_b32 s38, 0xfefa39ef
	s_mov_b32 s39, 0xbfe62e42
	global_load_b64 v[8:9], v[8:9], off
	s_clause 0x2
	s_load_b128 s[28:31], s[0:1], 0x20
	s_load_b512 s[4:19], s[0:1], 0x50
	s_load_b256 s[20:27], s[0:1], 0x90
	s_mov_b32 s1, 0
	s_waitcnt lgkmcnt(0)
	v_mad_u64_u32 v[12:13], null, v1, s6, 0
	v_mad_u64_u32 v[14:15], null, v1, s12, 0
	v_mul_lo_u32 v22, v3, s20
	v_mul_lo_u32 v23, v0, s21
	v_mad_u64_u32 v[20:21], null, v0, s20, 0
	v_mul_lo_u32 v27, v3, s26
	v_mul_lo_u32 v28, v0, s27
	v_mad_u64_u32 v[2:3], null, v0, s26, 0
	v_dual_mov_b32 v0, v13 :: v_dual_mov_b32 v13, v15
	v_mad_u64_u32 v[16:17], null, v1, s16, 0
	v_add3_u32 v21, v21, v23, v22
	s_delay_alu instid0(VALU_DEP_3) | instskip(NEXT) | instid1(VALU_DEP_4)
	v_mad_u64_u32 v[22:23], null, v1, s7, v[0:1]
	v_mad_u64_u32 v[23:24], null, v1, s13, v[13:14]
	;; [unrolled: 1-line block ×3, first 2 shown]
	v_mov_b32_e32 v15, v17
	v_add3_u32 v3, v3, v28, v27
	v_mov_b32_e32 v13, v22
	s_mov_b32 s6, 11
	s_mov_b32 s7, 0x3fe00000
	v_mad_u64_u32 v[24:25], null, v1, s17, v[15:16]
	v_mov_b32_e32 v15, v23
	v_mov_b32_e32 v17, v19
	v_lshlrev_b64 v[12:13], 3, v[12:13]
	v_lshlrev_b64 v[2:3], 3, v[2:3]
	s_delay_alu instid0(VALU_DEP_4) | instskip(NEXT) | instid1(VALU_DEP_4)
	v_lshlrev_b64 v[14:15], 3, v[14:15]
	v_mad_u64_u32 v[25:26], null, v1, s23, v[17:18]
	v_mov_b32_e32 v17, v24
	v_lshlrev_b64 v[0:1], 3, v[20:21]
	s_delay_alu instid0(VALU_DEP_4)
	v_add_co_u32 v22, vcc_lo, s30, v14
	v_add_co_ci_u32_e32 v23, vcc_lo, s31, v15, vcc_lo
	v_add_co_u32 v24, vcc_lo, s36, v12
	v_mov_b32_e32 v19, v25
	v_add_co_ci_u32_e32 v25, vcc_lo, s37, v13, vcc_lo
	v_lshlrev_b64 v[16:17], 3, v[16:17]
	s_delay_alu instid0(VALU_DEP_3) | instskip(NEXT) | instid1(VALU_DEP_2)
	v_lshlrev_b64 v[18:19], 3, v[18:19]
	v_add_co_u32 v16, vcc_lo, s42, v16
	s_delay_alu instid0(VALU_DEP_3) | instskip(NEXT) | instid1(VALU_DEP_3)
	v_add_co_ci_u32_e32 v17, vcc_lo, s43, v17, vcc_lo
	v_add_co_u32 v27, vcc_lo, s28, v18
	s_delay_alu instid0(VALU_DEP_4)
	v_add_co_ci_u32_e32 v28, vcc_lo, s29, v19, vcc_lo
	s_waitcnt vmcnt(1)
	v_mul_lo_u32 v14, v11, s14
	v_mul_lo_u32 v15, v10, s15
	v_mad_u64_u32 v[12:13], null, v10, s14, 0
	v_mul_lo_u32 v11, v11, s8
	v_mul_lo_u32 v26, v10, s9
	v_mad_u64_u32 v[20:21], null, v10, s8, 0
	s_delay_alu instid0(VALU_DEP_4) | instskip(SKIP_2) | instid1(VALU_DEP_4)
	v_add3_u32 v13, v13, v15, v14
	v_add_co_u32 v14, vcc_lo, v16, v0
	v_add_co_ci_u32_e32 v15, vcc_lo, v17, v1, vcc_lo
	v_add3_u32 v21, v21, v26, v11
	s_delay_alu instid0(VALU_DEP_4) | instskip(NEXT) | instid1(VALU_DEP_2)
	v_lshlrev_b64 v[10:11], 3, v[12:13]
	v_lshlrev_b64 v[0:1], 3, v[20:21]
	s_delay_alu instid0(VALU_DEP_2) | instskip(NEXT) | instid1(VALU_DEP_3)
	v_add_co_u32 v16, vcc_lo, v22, v10
	v_add_co_ci_u32_e32 v17, vcc_lo, v23, v11, vcc_lo
	s_delay_alu instid0(VALU_DEP_3) | instskip(NEXT) | instid1(VALU_DEP_4)
	v_add_co_u32 v18, vcc_lo, v24, v0
	v_add_co_ci_u32_e32 v19, vcc_lo, v25, v1, vcc_lo
	v_add_co_u32 v20, vcc_lo, v27, v2
	v_add_co_ci_u32_e32 v21, vcc_lo, v28, v3, vcc_lo
.LBB5_4:                                ; =>This Loop Header: Depth=1
                                        ;     Child Loop BB5_5 Depth 2
	s_mul_i32 s0, s34, s19
	s_mul_hi_u32 s8, s34, s18
	s_mul_i32 s9, s35, s18
	s_add_i32 s0, s8, s0
	s_mul_hi_u32 s12, s34, s24
	s_add_i32 s9, s0, s9
	s_mul_i32 s0, s34, s25
	s_mul_i32 s8, s34, s18
	s_add_i32 s0, s12, s0
	s_mul_i32 s12, s35, s24
	s_lshl_b64 s[8:9], s[8:9], 3
	s_add_i32 s13, s0, s12
	s_mul_i32 s12, s34, s24
	v_add_co_u32 v0, vcc_lo, v14, s8
	v_add_co_ci_u32_e32 v1, vcc_lo, s9, v15, vcc_lo
	s_lshl_b64 s[8:9], s[12:13], 3
	s_mul_i32 s0, s34, s11
	v_add_co_u32 v2, vcc_lo, v20, s8
	v_add_co_ci_u32_e32 v3, vcc_lo, s9, v21, vcc_lo
	global_load_b64 v[0:1], v[0:1], off
	global_load_b64 v[2:3], v[2:3], off
	s_mul_hi_u32 s8, s34, s10
	s_mul_i32 s9, s35, s10
	s_add_i32 s0, s8, s0
	s_mul_i32 s8, s34, s10
	s_add_i32 s9, s0, s9
	s_mul_i32 s0, s34, s5
	s_lshl_b64 s[8:9], s[8:9], 3
	s_delay_alu instid0(SALU_CYCLE_1)
	v_add_co_u32 v10, vcc_lo, v16, s8
	v_add_co_ci_u32_e32 v11, vcc_lo, s9, v17, vcc_lo
	s_mul_hi_u32 s8, s34, s4
	s_mul_i32 s9, s35, s4
	s_add_i32 s0, s8, s0
	global_load_b64 v[10:11], v[10:11], off
	s_mul_i32 s8, s34, s4
	s_add_i32 s9, s0, s9
	s_delay_alu instid0(SALU_CYCLE_1) | instskip(SKIP_2) | instid1(VALU_DEP_1)
	s_lshl_b64 s[8:9], s[8:9], 3
	s_waitcnt vmcnt(1)
	v_add_f64 v[0:1], v[0:1], v[2:3]
	v_add_f64 v[0:1], v[4:5], v[0:1]
	s_waitcnt vmcnt(0)
	s_delay_alu instid0(VALU_DEP_1) | instskip(SKIP_2) | instid1(VALU_DEP_3)
	v_add_f64 v[0:1], v[0:1], -v[10:11]
	v_add_co_u32 v10, vcc_lo, v18, s8
	v_add_co_ci_u32_e32 v11, vcc_lo, s9, v19, vcc_lo
	v_mul_f64 v[2:3], v[0:1], s[2:3]
	v_cmp_nlt_f64_e32 vcc_lo, 0x40900000, v[0:1]
	v_cmp_ngt_f64_e64 s0, 0xc090cc00, v[0:1]
	s_delay_alu instid0(VALU_DEP_3) | instskip(NEXT) | instid1(VALU_DEP_1)
	v_rndne_f64_e32 v[12:13], v[2:3]
	v_fma_f64 v[2:3], v[12:13], s[38:39], v[0:1]
	v_cvt_i32_f64_e32 v26, v[12:13]
	s_delay_alu instid0(VALU_DEP_2) | instskip(NEXT) | instid1(VALU_DEP_1)
	v_fma_f64 v[22:23], v[12:13], s[40:41], v[2:3]
	v_fma_f64 v[2:3], v[22:23], s[46:47], s[44:45]
	s_delay_alu instid0(VALU_DEP_1) | instskip(NEXT) | instid1(VALU_DEP_1)
	v_fma_f64 v[2:3], v[22:23], v[2:3], s[48:49]
	v_fma_f64 v[2:3], v[22:23], v[2:3], s[50:51]
	s_delay_alu instid0(VALU_DEP_1) | instskip(NEXT) | instid1(VALU_DEP_1)
	v_fma_f64 v[2:3], v[22:23], v[2:3], s[52:53]
	v_fma_f64 v[2:3], v[22:23], v[2:3], s[54:55]
	s_delay_alu instid0(VALU_DEP_1) | instskip(SKIP_2) | instid1(VALU_DEP_1)
	v_fma_f64 v[24:25], v[22:23], v[2:3], s[56:57]
	global_load_b64 v[2:3], v[10:11], off
	v_fma_f64 v[24:25], v[22:23], v[24:25], s[58:59]
	v_fma_f64 v[24:25], v[22:23], v[24:25], s[60:61]
	s_delay_alu instid0(VALU_DEP_1) | instskip(NEXT) | instid1(VALU_DEP_1)
	v_fma_f64 v[24:25], v[22:23], v[24:25], s[6:7]
	v_fma_f64 v[24:25], v[22:23], v[24:25], 1.0
	s_delay_alu instid0(VALU_DEP_1) | instskip(NEXT) | instid1(VALU_DEP_1)
	v_fma_f64 v[12:13], v[22:23], v[24:25], 1.0
	v_ldexp_f64 v[12:13], -v[12:13], v26
	s_delay_alu instid0(VALU_DEP_1) | instskip(SKIP_1) | instid1(VALU_DEP_2)
	v_cndmask_b32_e32 v13, 0xfff00000, v13, vcc_lo
	s_and_b32 vcc_lo, s0, vcc_lo
	v_cndmask_b32_e32 v0, 0, v12, vcc_lo
	s_delay_alu instid0(VALU_DEP_2) | instskip(SKIP_1) | instid1(VALU_DEP_1)
	v_cndmask_b32_e64 v1, 0x80000000, v13, s0
	s_mov_b32 s0, 0
	v_mul_f64 v[12:13], v[8:9], v[0:1]
.LBB5_5:                                ;   Parent Loop BB5_4 Depth=1
                                        ; =>  This Inner Loop Header: Depth=2
	s_waitcnt vmcnt(0)
	s_delay_alu instid0(VALU_DEP_1)
	v_add_f64 v[0:1], v[2:3], v[12:13]
	global_atomic_cmpswap_b64 v[0:1], v[10:11], v[0:3], off glc
	s_waitcnt vmcnt(0)
	v_cmp_eq_u64_e32 vcc_lo, v[0:1], v[2:3]
	v_dual_mov_b32 v3, v1 :: v_dual_mov_b32 v2, v0
	s_or_b32 s0, vcc_lo, s0
	s_delay_alu instid0(SALU_CYCLE_1)
	s_and_not1_b32 exec_lo, exec_lo, s0
	s_cbranch_execnz .LBB5_5
; %bb.6:                                ;   in Loop: Header=BB5_4 Depth=1
	s_or_b32 exec_lo, exec_lo, s0
	s_add_u32 s34, s34, 1
	s_addc_u32 s35, s35, 0
	s_delay_alu instid0(SALU_CYCLE_1) | instskip(SKIP_1) | instid1(SALU_CYCLE_1)
	v_cmp_eq_u64_e32 vcc_lo, s[34:35], v[6:7]
	s_or_b32 s1, vcc_lo, s1
	s_and_not1_b32 exec_lo, exec_lo, s1
	s_cbranch_execnz .LBB5_4
.LBB5_7:
	s_endpgm
	.section	.rodata,"a",@progbits
	.p2align	6, 0x0
	.amdhsa_kernel _ZN2at6native12_GLOBAL__N_145ctc_loss_backward_collect_nonblank_gpu_kernelIdlEEvPT_PKS3_lS6_S6_S6_PKlPKT0_S8_S6_llllllllllllS8_llb
		.amdhsa_group_segment_fixed_size 0
		.amdhsa_private_segment_fixed_size 0
		.amdhsa_kernarg_size 464
		.amdhsa_user_sgpr_count 14
		.amdhsa_user_sgpr_dispatch_ptr 0
		.amdhsa_user_sgpr_queue_ptr 0
		.amdhsa_user_sgpr_kernarg_segment_ptr 1
		.amdhsa_user_sgpr_dispatch_id 0
		.amdhsa_user_sgpr_private_segment_size 0
		.amdhsa_wavefront_size32 1
		.amdhsa_uses_dynamic_stack 0
		.amdhsa_enable_private_segment 0
		.amdhsa_system_sgpr_workgroup_id_x 1
		.amdhsa_system_sgpr_workgroup_id_y 1
		.amdhsa_system_sgpr_workgroup_id_z 0
		.amdhsa_system_sgpr_workgroup_info 0
		.amdhsa_system_vgpr_workitem_id 1
		.amdhsa_next_free_vgpr 29
		.amdhsa_next_free_sgpr 62
		.amdhsa_reserve_vcc 1
		.amdhsa_float_round_mode_32 0
		.amdhsa_float_round_mode_16_64 0
		.amdhsa_float_denorm_mode_32 3
		.amdhsa_float_denorm_mode_16_64 3
		.amdhsa_dx10_clamp 1
		.amdhsa_ieee_mode 1
		.amdhsa_fp16_overflow 0
		.amdhsa_workgroup_processor_mode 1
		.amdhsa_memory_ordered 1
		.amdhsa_forward_progress 0
		.amdhsa_shared_vgpr_count 0
		.amdhsa_exception_fp_ieee_invalid_op 0
		.amdhsa_exception_fp_denorm_src 0
		.amdhsa_exception_fp_ieee_div_zero 0
		.amdhsa_exception_fp_ieee_overflow 0
		.amdhsa_exception_fp_ieee_underflow 0
		.amdhsa_exception_fp_ieee_inexact 0
		.amdhsa_exception_int_div_zero 0
	.end_amdhsa_kernel
	.section	.text._ZN2at6native12_GLOBAL__N_145ctc_loss_backward_collect_nonblank_gpu_kernelIdlEEvPT_PKS3_lS6_S6_S6_PKlPKT0_S8_S6_llllllllllllS8_llb,"axG",@progbits,_ZN2at6native12_GLOBAL__N_145ctc_loss_backward_collect_nonblank_gpu_kernelIdlEEvPT_PKS3_lS6_S6_S6_PKlPKT0_S8_S6_llllllllllllS8_llb,comdat
.Lfunc_end5:
	.size	_ZN2at6native12_GLOBAL__N_145ctc_loss_backward_collect_nonblank_gpu_kernelIdlEEvPT_PKS3_lS6_S6_S6_PKlPKT0_S8_S6_llllllllllllS8_llb, .Lfunc_end5-_ZN2at6native12_GLOBAL__N_145ctc_loss_backward_collect_nonblank_gpu_kernelIdlEEvPT_PKS3_lS6_S6_S6_PKlPKT0_S8_S6_llllllllllllS8_llb
                                        ; -- End function
	.section	.AMDGPU.csdata,"",@progbits
; Kernel info:
; codeLenInByte = 1748
; NumSgprs: 64
; NumVgprs: 29
; ScratchSize: 0
; MemoryBound: 0
; FloatMode: 240
; IeeeMode: 1
; LDSByteSize: 0 bytes/workgroup (compile time only)
; SGPRBlocks: 7
; VGPRBlocks: 3
; NumSGPRsForWavesPerEU: 64
; NumVGPRsForWavesPerEU: 29
; Occupancy: 14
; WaveLimiterHint : 1
; COMPUTE_PGM_RSRC2:SCRATCH_EN: 0
; COMPUTE_PGM_RSRC2:USER_SGPR: 14
; COMPUTE_PGM_RSRC2:TRAP_HANDLER: 0
; COMPUTE_PGM_RSRC2:TGID_X_EN: 1
; COMPUTE_PGM_RSRC2:TGID_Y_EN: 1
; COMPUTE_PGM_RSRC2:TGID_Z_EN: 0
; COMPUTE_PGM_RSRC2:TIDIG_COMP_CNT: 1
	.section	.text._ZN2at6native12_GLOBAL__N_136ctc_loss_backward_collect_gpu_kernelIdlEEvPT_PKS3_lS6_S6_S6_PKllPKT0_S8_lS6_llllllllllllS8_llllb,"axG",@progbits,_ZN2at6native12_GLOBAL__N_136ctc_loss_backward_collect_gpu_kernelIdlEEvPT_PKS3_lS6_S6_S6_PKllPKT0_S8_lS6_llllllllllllS8_llllb,comdat
	.globl	_ZN2at6native12_GLOBAL__N_136ctc_loss_backward_collect_gpu_kernelIdlEEvPT_PKS3_lS6_S6_S6_PKllPKT0_S8_lS6_llllllllllllS8_llllb ; -- Begin function _ZN2at6native12_GLOBAL__N_136ctc_loss_backward_collect_gpu_kernelIdlEEvPT_PKS3_lS6_S6_S6_PKllPKT0_S8_lS6_llllllllllllS8_llllb
	.p2align	8
	.type	_ZN2at6native12_GLOBAL__N_136ctc_loss_backward_collect_gpu_kernelIdlEEvPT_PKS3_lS6_S6_S6_PKllPKT0_S8_lS6_llllllllllllS8_llllb,@function
_ZN2at6native12_GLOBAL__N_136ctc_loss_backward_collect_gpu_kernelIdlEEvPT_PKS3_lS6_S6_S6_PKllPKT0_S8_lS6_llllllllllllS8_llllb: ; @_ZN2at6native12_GLOBAL__N_136ctc_loss_backward_collect_gpu_kernelIdlEEvPT_PKS3_lS6_S6_S6_PKllPKT0_S8_lS6_llllllllllllS8_llllb
; %bb.0:
	s_load_b32 s4, s[0:1], 0xfc
	v_bfe_u32 v3, v0, 10, 10
	s_clause 0x1
	s_load_b64 s[2:3], s[0:1], 0x38
	s_load_b256 s[24:31], s[0:1], 0xc8
	v_and_b32_e32 v5, 0x3ff, v0
	s_waitcnt lgkmcnt(0)
	s_lshr_b32 s5, s4, 16
	s_and_b32 s4, s4, 0xffff
	v_mad_u64_u32 v[1:2], null, s15, s5, v[3:4]
	v_mov_b32_e32 v2, 0
	s_delay_alu instid0(VALU_DEP_1) | instskip(NEXT) | instid1(VALU_DEP_1)
	v_mov_b32_e32 v6, v2
	v_mad_u64_u32 v[3:4], null, s4, s14, v[5:6]
	s_delay_alu instid0(VALU_DEP_1) | instskip(SKIP_1) | instid1(VALU_DEP_1)
	v_cmp_gt_i64_e32 vcc_lo, s[2:3], v[3:4]
	v_cmp_gt_i64_e64 s2, s[26:27], v[1:2]
	s_and_b32 s2, vcc_lo, s2
	s_delay_alu instid0(SALU_CYCLE_1)
	s_and_saveexec_b32 s3, s2
	s_cbranch_execz .LBB6_15
; %bb.1:
	s_clause 0x1
	s_load_b64 s[4:5], s[0:1], 0x30
	s_load_b64 s[2:3], s[0:1], 0x50
	v_lshlrev_b64 v[7:8], 3, v[1:2]
	s_clause 0x1
	s_load_b64 s[26:27], s[0:1], 0x0
	s_load_b512 s[8:23], s[0:1], 0x60
	s_waitcnt lgkmcnt(0)
	s_delay_alu instid0(VALU_DEP_1)
	v_add_co_u32 v5, vcc_lo, s4, v7
	v_add_co_ci_u32_e32 v6, vcc_lo, s5, v8, vcc_lo
	v_mad_u64_u32 v[9:10], null, v1, s10, 0
	v_cmp_lt_i64_e64 s4, s[2:3], 0
	global_load_b64 v[5:6], v[5:6], off
	v_mul_lo_u32 v2, v3, s9
	v_mov_b32_e32 v0, v10
	s_and_b32 vcc_lo, exec_lo, s4
	s_delay_alu instid0(VALU_DEP_1) | instskip(SKIP_2) | instid1(VALU_DEP_2)
	v_mad_u64_u32 v[10:11], null, v1, s11, v[0:1]
	v_mul_lo_u32 v0, v4, s8
	s_mov_b64 s[10:11], 0
	v_lshlrev_b64 v[9:10], 3, v[9:10]
	s_cbranch_vccnz .LBB6_10
; %bb.2:
	s_clause 0x3
	s_load_b64 s[34:35], s[0:1], 0xc0
	s_load_b128 s[4:7], s[0:1], 0x40
	s_load_b128 s[44:47], s[0:1], 0x18
	s_load_b256 s[36:43], s[0:1], 0xa0
	v_mul_lo_u32 v21, v4, s22
	v_mul_lo_u32 v22, v3, s23
	v_mad_u64_u32 v[19:20], null, v3, s8, 0
	s_mov_b32 s48, 0xfefa39ef
	s_mov_b32 s50, 0x3b39803f
	s_mov_b32 s52, 0xfca7ab0c
	s_mov_b32 s54, 0x6a5dcb37
	s_mov_b32 s56, 0x623fde64
	s_mov_b32 s58, 0x7c89e6b0
	s_delay_alu instid0(VALU_DEP_1)
	v_add3_u32 v20, v20, v2, v0
	s_mov_b32 s60, 0x14761f6e
	s_mov_b32 s62, 0x1852b7b0
	;; [unrolled: 1-line block ×4, first 2 shown]
	v_lshlrev_b64 v[19:20], 3, v[19:20]
	s_waitcnt lgkmcnt(0)
	v_add_co_u32 v11, vcc_lo, s34, v7
	v_add_co_ci_u32_e32 v12, vcc_lo, s35, v8, vcc_lo
	v_add_co_u32 v13, vcc_lo, s6, v7
	v_add_co_ci_u32_e32 v14, vcc_lo, s7, v8, vcc_lo
	v_add_co_u32 v25, vcc_lo, s26, v9
	global_load_b64 v[15:16], v[11:12], off
	global_load_b64 v[17:18], v[13:14], off
	v_mad_u64_u32 v[11:12], null, v1, s20, 0
	v_mad_u64_u32 v[13:14], null, v3, s22, 0
	v_add_co_ci_u32_e32 v26, vcc_lo, s27, v10, vcc_lo
	v_mul_lo_u32 v29, v4, s40
	v_mul_lo_u32 v30, v3, s41
	v_mad_u64_u32 v[27:28], null, v3, s40, 0
	v_add3_u32 v14, v14, v22, v21
	v_mad_u64_u32 v[21:22], null, v1, s38, 0
	v_mad_u64_u32 v[23:24], null, v1, s21, v[12:13]
	v_add_co_u32 v25, vcc_lo, v25, v19
	s_delay_alu instid0(VALU_DEP_4)
	v_lshlrev_b64 v[13:14], 3, v[13:14]
	v_add_co_ci_u32_e32 v26, vcc_lo, v26, v20, vcc_lo
	v_add3_u32 v28, v28, v30, v29
	v_mov_b32_e32 v12, v23
	v_mad_u64_u32 v[23:24], null, v1, s39, v[22:23]
	s_mov_b32 s34, 0x652b82fe
	s_delay_alu instid0(VALU_DEP_3) | instskip(NEXT) | instid1(VALU_DEP_3)
	v_lshlrev_b64 v[19:20], 3, v[27:28]
	v_lshlrev_b64 v[11:12], 3, v[11:12]
	s_mov_b32 s68, 0x55555511
	s_mov_b32 s70, 11
	;; [unrolled: 1-line block ×3, first 2 shown]
	s_delay_alu instid0(VALU_DEP_3) | instskip(SKIP_3) | instid1(VALU_DEP_3)
	v_mov_b32_e32 v22, v23
	s_mov_b32 s74, 0x6b47b09a
	v_add_co_u32 v11, vcc_lo, s44, v11
	v_add_co_ci_u32_e32 v12, vcc_lo, s45, v12, vcc_lo
	v_lshlrev_b64 v[21:22], 3, v[21:22]
	s_delay_alu instid0(VALU_DEP_3) | instskip(NEXT) | instid1(VALU_DEP_3)
	v_add_co_u32 v11, vcc_lo, v11, v13
	v_add_co_ci_u32_e32 v12, vcc_lo, v12, v14, vcc_lo
	s_mov_b32 s76, 0xbf559e2b
	s_delay_alu instid0(VALU_DEP_3) | instskip(NEXT) | instid1(VALU_DEP_4)
	v_add_co_u32 v13, vcc_lo, s46, v21
	v_add_co_ci_u32_e32 v14, vcc_lo, s47, v22, vcc_lo
	s_mov_b32 s78, 0xd7f4df2e
	s_delay_alu instid0(VALU_DEP_2) | instskip(NEXT) | instid1(VALU_DEP_2)
	v_add_co_u32 v13, vcc_lo, v13, v19
	v_add_co_ci_u32_e32 v14, vcc_lo, v14, v20, vcc_lo
	s_mov_b32 s80, 0x16291751
	s_mov_b32 s82, 0x9b27acf1
	;; [unrolled: 1-line block ×3, first 2 shown]
	s_lshl_b64 s[6:7], s[2:3], 1
	s_mov_b32 s23, 0
	s_mov_b32 s35, 0x3ff71547
	;; [unrolled: 1-line block ×21, first 2 shown]
	s_lshl_b64 s[20:21], s[36:37], 3
	s_lshl_b64 s[36:37], s[42:43], 3
	s_mov_b32 s38, 0x55555780
	s_mov_b32 s41, 0x3c7abc9e
	s_waitcnt vmcnt(1)
	v_lshlrev_b64 v[21:22], 3, v[15:16]
	s_waitcnt vmcnt(0)
	v_lshlrev_b64 v[15:16], 1, v[17:18]
	v_mov_b32_e32 v17, 0
	s_delay_alu instid0(VALU_DEP_3) | instskip(NEXT) | instid1(VALU_DEP_4)
	v_add_co_u32 v27, vcc_lo, s4, v21
	v_add_co_ci_u32_e32 v28, vcc_lo, s5, v22, vcc_lo
	s_mov_b32 s5, 0x3fe62e42
	s_branch .LBB6_5
.LBB6_3:                                ;   in Loop: Header=BB6_5 Depth=1
	s_or_b32 exec_lo, exec_lo, s22
	global_store_b64 v[19:20], v[21:22], off
.LBB6_4:                                ;   in Loop: Header=BB6_5 Depth=1
	s_or_b32 exec_lo, exec_lo, s9
	s_add_u32 s10, s10, 1
	s_addc_u32 s11, s11, 0
	v_add_co_u32 v11, vcc_lo, v11, s20
	v_cmp_lt_i64_e64 s2, s[6:7], s[10:11]
	v_add_co_ci_u32_e32 v12, vcc_lo, s21, v12, vcc_lo
	v_add_co_u32 v13, vcc_lo, v13, s36
	v_add_co_ci_u32_e32 v14, vcc_lo, s37, v14, vcc_lo
	s_delay_alu instid0(VALU_DEP_4)
	s_and_b32 vcc_lo, exec_lo, s2
	s_cbranch_vccnz .LBB6_10
.LBB6_5:                                ; =>This Inner Loop Header: Depth=1
	s_mov_b32 s9, exec_lo
	v_cmpx_le_i64_e64 s[10:11], v[15:16]
	s_cbranch_execz .LBB6_4
; %bb.6:                                ;   in Loop: Header=BB6_5 Depth=1
	v_dual_mov_b32 v18, s30 :: v_dual_mov_b32 v19, s31
	s_and_b32 s22, s10, 1
	s_delay_alu instid0(SALU_CYCLE_1)
	s_cmp_eq_u64 s[22:23], 0
	s_cbranch_scc1 .LBB6_8
; %bb.7:                                ;   in Loop: Header=BB6_5 Depth=1
	v_alignbit_b32 v18, s11, s10, 1
	s_lshr_b32 s2, s11, 1
	s_delay_alu instid0(SALU_CYCLE_1) | instskip(NEXT) | instid1(VALU_DEP_1)
	s_mul_i32 s2, s2, s24
	v_mul_lo_u32 v19, v18, s25
	v_mul_hi_u32 v20, v18, s24
	v_mul_lo_u32 v18, v18, s24
	s_delay_alu instid0(VALU_DEP_2) | instskip(NEXT) | instid1(VALU_DEP_1)
	v_add_nc_u32_e32 v19, v20, v19
	v_add_nc_u32_e32 v19, s2, v19
	s_delay_alu instid0(VALU_DEP_1) | instskip(NEXT) | instid1(VALU_DEP_1)
	v_lshlrev_b64 v[18:19], 3, v[18:19]
	v_add_co_u32 v18, vcc_lo, v27, v18
	s_delay_alu instid0(VALU_DEP_2)
	v_add_co_ci_u32_e32 v19, vcc_lo, v28, v19, vcc_lo
	global_load_b64 v[18:19], v[18:19], off
.LBB6_8:                                ;   in Loop: Header=BB6_5 Depth=1
	s_waitcnt vmcnt(0)
	v_mul_lo_u32 v21, v19, s12
	v_mul_lo_u32 v22, v18, s13
	v_mad_u64_u32 v[19:20], null, v18, s12, 0
	s_mov_b32 s22, exec_lo
	s_delay_alu instid0(VALU_DEP_1) | instskip(NEXT) | instid1(VALU_DEP_1)
	v_add3_u32 v20, v20, v22, v21
	v_lshlrev_b64 v[19:20], 3, v[19:20]
	s_delay_alu instid0(VALU_DEP_1) | instskip(NEXT) | instid1(VALU_DEP_2)
	v_add_co_u32 v19, vcc_lo, v25, v19
	v_add_co_ci_u32_e32 v20, vcc_lo, v26, v20, vcc_lo
	global_load_b64 v[21:22], v[11:12], off
	global_load_b64 v[29:30], v[13:14], off
	;; [unrolled: 1-line block ×3, first 2 shown]
	s_waitcnt vmcnt(1)
	v_add_f64 v[21:22], v[21:22], v[29:30]
	s_waitcnt vmcnt(0)
	v_cmpx_neq_f64_e32 0xfff00000, v[23:24]
	s_cbranch_execz .LBB6_3
; %bb.9:                                ;   in Loop: Header=BB6_5 Depth=1
	s_delay_alu instid0(VALU_DEP_2) | instskip(SKIP_3) | instid1(VALU_DEP_1)
	v_cmp_gt_f64_e32 vcc_lo, v[23:24], v[21:22]
	s_mov_b32 s39, s73
	s_mov_b32 s40, s50
	v_dual_cndmask_b32 v30, v22, v24 :: v_dual_cndmask_b32 v29, v21, v23
	v_add_f64 v[23:24], v[23:24], -v[29:30]
	v_add_f64 v[21:22], v[21:22], -v[29:30]
	s_delay_alu instid0(VALU_DEP_2) | instskip(NEXT) | instid1(VALU_DEP_2)
	v_mul_f64 v[31:32], v[23:24], s[34:35]
	v_mul_f64 v[33:34], v[21:22], s[34:35]
	v_cmp_nlt_f64_e32 vcc_lo, 0x40900000, v[23:24]
	v_cmp_nlt_f64_e64 s3, 0x40900000, v[21:22]
	v_cmp_ngt_f64_e64 s2, 0xc090cc00, v[23:24]
	v_cmp_ngt_f64_e64 s4, 0xc090cc00, v[21:22]
	v_rndne_f64_e32 v[31:32], v[31:32]
	v_rndne_f64_e32 v[33:34], v[33:34]
	s_delay_alu instid0(VALU_DEP_2) | instskip(NEXT) | instid1(VALU_DEP_2)
	v_fma_f64 v[35:36], v[31:32], s[48:49], v[23:24]
	v_fma_f64 v[37:38], v[33:34], s[48:49], v[21:22]
	v_cvt_i32_f64_e32 v18, v[31:32]
	s_delay_alu instid0(VALU_DEP_3) | instskip(NEXT) | instid1(VALU_DEP_3)
	v_fma_f64 v[35:36], v[31:32], s[50:51], v[35:36]
	v_fma_f64 v[37:38], v[33:34], s[50:51], v[37:38]
	s_delay_alu instid0(VALU_DEP_2) | instskip(NEXT) | instid1(VALU_DEP_2)
	v_fma_f64 v[39:40], v[35:36], s[54:55], s[52:53]
	v_fma_f64 v[41:42], v[37:38], s[54:55], s[52:53]
	s_delay_alu instid0(VALU_DEP_2) | instskip(NEXT) | instid1(VALU_DEP_2)
	;; [unrolled: 3-line block ×10, first 2 shown]
	v_fma_f64 v[39:40], v[35:36], v[39:40], 1.0
	v_fma_f64 v[41:42], v[37:38], v[41:42], 1.0
	s_delay_alu instid0(VALU_DEP_2) | instskip(SKIP_1) | instid1(VALU_DEP_3)
	v_fma_f64 v[31:32], v[35:36], v[39:40], 1.0
	v_cvt_i32_f64_e32 v35, v[33:34]
	v_fma_f64 v[33:34], v[37:38], v[41:42], 1.0
	s_delay_alu instid0(VALU_DEP_3) | instskip(NEXT) | instid1(VALU_DEP_2)
	v_ldexp_f64 v[31:32], v[31:32], v18
	v_ldexp_f64 v[33:34], v[33:34], v35
	s_delay_alu instid0(VALU_DEP_2) | instskip(SKIP_1) | instid1(VALU_DEP_2)
	v_cndmask_b32_e32 v18, 0x7ff00000, v32, vcc_lo
	s_and_b32 vcc_lo, s2, vcc_lo
	v_cndmask_b32_e64 v23, 0x7ff00000, v34, s3
	s_delay_alu instid0(VALU_DEP_4) | instskip(SKIP_2) | instid1(VALU_DEP_3)
	v_cndmask_b32_e32 v21, 0, v31, vcc_lo
	s_and_b32 vcc_lo, s4, s3
	v_cndmask_b32_e64 v22, 0, v18, s2
	v_cndmask_b32_e64 v24, 0, v23, s4
	v_cndmask_b32_e32 v23, 0, v33, vcc_lo
	s_mov_b32 s4, s48
	s_delay_alu instid0(VALU_DEP_1) | instskip(NEXT) | instid1(VALU_DEP_1)
	v_add_f64 v[21:22], v[21:22], v[23:24]
	v_frexp_mant_f64_e32 v[23:24], v[21:22]
	s_delay_alu instid0(VALU_DEP_1) | instskip(SKIP_1) | instid1(VALU_DEP_1)
	v_cmp_gt_f64_e32 vcc_lo, s[72:73], v[23:24]
	v_cndmask_b32_e64 v18, 0x3ff00000, 2.0, vcc_lo
	v_mul_f64 v[23:24], v[23:24], v[17:18]
	v_frexp_exp_i32_f64_e32 v18, v[21:22]
	s_delay_alu instid0(VALU_DEP_2) | instskip(SKIP_1) | instid1(VALU_DEP_3)
	v_add_f64 v[31:32], v[23:24], 1.0
	v_add_f64 v[37:38], v[23:24], -1.0
	v_subrev_co_ci_u32_e32 v18, vcc_lo, 0, v18, vcc_lo
	v_cmp_class_f64_e64 vcc_lo, v[21:22], 0x204
	s_delay_alu instid0(VALU_DEP_4) | instskip(SKIP_1) | instid1(VALU_DEP_1)
	v_rcp_f64_e32 v[33:34], v[31:32]
	v_add_f64 v[39:40], v[31:32], -1.0
	v_add_f64 v[23:24], v[23:24], -v[39:40]
	s_waitcnt_depctr 0xfff
	v_fma_f64 v[35:36], -v[31:32], v[33:34], 1.0
	s_delay_alu instid0(VALU_DEP_1) | instskip(NEXT) | instid1(VALU_DEP_1)
	v_fma_f64 v[33:34], v[35:36], v[33:34], v[33:34]
	v_fma_f64 v[35:36], -v[31:32], v[33:34], 1.0
	s_delay_alu instid0(VALU_DEP_1) | instskip(NEXT) | instid1(VALU_DEP_1)
	v_fma_f64 v[33:34], v[35:36], v[33:34], v[33:34]
	v_mul_f64 v[35:36], v[37:38], v[33:34]
	s_delay_alu instid0(VALU_DEP_1) | instskip(NEXT) | instid1(VALU_DEP_1)
	v_mul_f64 v[41:42], v[31:32], v[35:36]
	v_fma_f64 v[31:32], v[35:36], v[31:32], -v[41:42]
	s_delay_alu instid0(VALU_DEP_1) | instskip(NEXT) | instid1(VALU_DEP_1)
	v_fma_f64 v[23:24], v[35:36], v[23:24], v[31:32]
	v_add_f64 v[31:32], v[41:42], v[23:24]
	s_delay_alu instid0(VALU_DEP_1) | instskip(SKIP_1) | instid1(VALU_DEP_2)
	v_add_f64 v[39:40], v[37:38], -v[31:32]
	v_add_f64 v[41:42], v[31:32], -v[41:42]
	;; [unrolled: 1-line block ×3, first 2 shown]
	s_delay_alu instid0(VALU_DEP_2) | instskip(NEXT) | instid1(VALU_DEP_2)
	v_add_f64 v[23:24], v[41:42], -v[23:24]
	v_add_f64 v[31:32], v[37:38], -v[31:32]
	s_delay_alu instid0(VALU_DEP_1) | instskip(NEXT) | instid1(VALU_DEP_1)
	v_add_f64 v[23:24], v[23:24], v[31:32]
	v_add_f64 v[23:24], v[39:40], v[23:24]
	s_delay_alu instid0(VALU_DEP_1) | instskip(NEXT) | instid1(VALU_DEP_1)
	v_mul_f64 v[23:24], v[33:34], v[23:24]
	v_add_f64 v[31:32], v[35:36], v[23:24]
	s_delay_alu instid0(VALU_DEP_1) | instskip(NEXT) | instid1(VALU_DEP_1)
	v_mul_f64 v[33:34], v[31:32], v[31:32]
	v_fma_f64 v[37:38], v[33:34], s[76:77], s[74:75]
	v_mul_f64 v[39:40], v[31:32], v[33:34]
	s_delay_alu instid0(VALU_DEP_2) | instskip(NEXT) | instid1(VALU_DEP_1)
	v_fma_f64 v[37:38], v[33:34], v[37:38], s[78:79]
	v_fma_f64 v[37:38], v[33:34], v[37:38], s[80:81]
	s_delay_alu instid0(VALU_DEP_1) | instskip(NEXT) | instid1(VALU_DEP_1)
	v_fma_f64 v[37:38], v[33:34], v[37:38], s[82:83]
	v_fma_f64 v[37:38], v[33:34], v[37:38], s[84:85]
	s_delay_alu instid0(VALU_DEP_1) | instskip(SKIP_2) | instid1(VALU_DEP_3)
	v_fma_f64 v[33:34], v[33:34], v[37:38], s[38:39]
	v_ldexp_f64 v[37:38], v[31:32], 1
	v_add_f64 v[31:32], v[31:32], -v[35:36]
	v_mul_f64 v[33:34], v[39:40], v[33:34]
	v_cvt_f64_i32_e32 v[39:40], v18
	s_delay_alu instid0(VALU_DEP_3) | instskip(NEXT) | instid1(VALU_DEP_3)
	v_add_f64 v[23:24], v[23:24], -v[31:32]
	v_add_f64 v[35:36], v[37:38], v[33:34]
	s_delay_alu instid0(VALU_DEP_3) | instskip(NEXT) | instid1(VALU_DEP_3)
	v_mul_f64 v[41:42], v[39:40], s[4:5]
	v_ldexp_f64 v[23:24], v[23:24], 1
	s_delay_alu instid0(VALU_DEP_3) | instskip(NEXT) | instid1(VALU_DEP_3)
	v_add_f64 v[31:32], v[35:36], -v[37:38]
	v_fma_f64 v[37:38], v[39:40], s[4:5], -v[41:42]
	s_delay_alu instid0(VALU_DEP_2) | instskip(NEXT) | instid1(VALU_DEP_2)
	v_add_f64 v[31:32], v[33:34], -v[31:32]
	v_fma_f64 v[33:34], v[39:40], s[40:41], v[37:38]
	s_delay_alu instid0(VALU_DEP_2) | instskip(NEXT) | instid1(VALU_DEP_2)
	v_add_f64 v[23:24], v[23:24], v[31:32]
	v_add_f64 v[31:32], v[41:42], v[33:34]
	s_delay_alu instid0(VALU_DEP_2) | instskip(NEXT) | instid1(VALU_DEP_2)
	v_add_f64 v[37:38], v[35:36], v[23:24]
	v_add_f64 v[41:42], v[31:32], -v[41:42]
	s_delay_alu instid0(VALU_DEP_2) | instskip(SKIP_1) | instid1(VALU_DEP_3)
	v_add_f64 v[39:40], v[31:32], v[37:38]
	v_add_f64 v[35:36], v[37:38], -v[35:36]
	v_add_f64 v[33:34], v[33:34], -v[41:42]
	s_delay_alu instid0(VALU_DEP_3) | instskip(NEXT) | instid1(VALU_DEP_3)
	v_add_f64 v[43:44], v[39:40], -v[31:32]
	v_add_f64 v[23:24], v[23:24], -v[35:36]
	s_delay_alu instid0(VALU_DEP_2) | instskip(SKIP_1) | instid1(VALU_DEP_3)
	v_add_f64 v[45:46], v[39:40], -v[43:44]
	v_add_f64 v[35:36], v[37:38], -v[43:44]
	v_add_f64 v[37:38], v[33:34], v[23:24]
	s_delay_alu instid0(VALU_DEP_3) | instskip(NEXT) | instid1(VALU_DEP_1)
	v_add_f64 v[31:32], v[31:32], -v[45:46]
	v_add_f64 v[31:32], v[35:36], v[31:32]
	s_delay_alu instid0(VALU_DEP_3) | instskip(NEXT) | instid1(VALU_DEP_2)
	v_add_f64 v[35:36], v[37:38], -v[33:34]
	v_add_f64 v[31:32], v[37:38], v[31:32]
	s_delay_alu instid0(VALU_DEP_2) | instskip(SKIP_1) | instid1(VALU_DEP_3)
	v_add_f64 v[37:38], v[37:38], -v[35:36]
	v_add_f64 v[23:24], v[23:24], -v[35:36]
	v_add_f64 v[41:42], v[39:40], v[31:32]
	s_delay_alu instid0(VALU_DEP_3) | instskip(NEXT) | instid1(VALU_DEP_2)
	v_add_f64 v[33:34], v[33:34], -v[37:38]
	v_add_f64 v[35:36], v[41:42], -v[39:40]
	s_delay_alu instid0(VALU_DEP_2) | instskip(NEXT) | instid1(VALU_DEP_2)
	v_add_f64 v[23:24], v[23:24], v[33:34]
	v_add_f64 v[31:32], v[31:32], -v[35:36]
	s_delay_alu instid0(VALU_DEP_1) | instskip(NEXT) | instid1(VALU_DEP_1)
	v_add_f64 v[23:24], v[23:24], v[31:32]
	v_add_f64 v[23:24], v[41:42], v[23:24]
	s_delay_alu instid0(VALU_DEP_1) | instskip(SKIP_1) | instid1(VALU_DEP_2)
	v_dual_cndmask_b32 v18, v23, v21 :: v_dual_cndmask_b32 v23, v24, v22
	v_cmp_ngt_f64_e32 vcc_lo, 0, v[21:22]
	v_cndmask_b32_e32 v24, 0x7ff80000, v23, vcc_lo
	v_cmp_nge_f64_e32 vcc_lo, 0, v[21:22]
	s_delay_alu instid0(VALU_DEP_4) | instskip(SKIP_1) | instid1(VALU_DEP_4)
	v_cndmask_b32_e32 v23, 0, v18, vcc_lo
	v_cmp_neq_f64_e32 vcc_lo, 0, v[21:22]
	v_cndmask_b32_e32 v24, 0xfff00000, v24, vcc_lo
	s_delay_alu instid0(VALU_DEP_1)
	v_add_f64 v[21:22], v[29:30], v[23:24]
	s_branch .LBB6_3
.LBB6_10:
	v_cmp_lt_i64_e64 s2, s[28:29], 1
	s_delay_alu instid0(VALU_DEP_1)
	s_and_b32 vcc_lo, exec_lo, s2
	s_cbranch_vccnz .LBB6_15
; %bb.11:
	s_clause 0x2
	s_load_b64 s[2:3], s[0:1], 0x58
	s_load_b128 s[4:7], s[0:1], 0x8
	s_load_b32 s33, s[0:1], 0xe8
	v_mad_u64_u32 v[15:16], null, v3, s8, 0
	v_mul_lo_u32 v19, v3, s15
	s_mov_b32 s8, 0x3b39803f
	s_mov_b32 s10, 0xfca7ab0c
	;; [unrolled: 1-line block ×5, first 2 shown]
	s_delay_alu instid0(VALU_DEP_2)
	v_add3_u32 v16, v16, v2, v0
	s_mov_b32 s30, 0x11122322
	s_mov_b32 s34, 0x55555511
	;; [unrolled: 1-line block ×8, first 2 shown]
	s_waitcnt lgkmcnt(0)
	v_add_co_u32 v7, vcc_lo, s2, v7
	v_add_co_ci_u32_e32 v8, vcc_lo, s3, v8, vcc_lo
	v_mad_u64_u32 v[11:12], null, v1, s6, 0
	s_load_b64 s[2:3], s[0:1], 0x28
	global_load_b64 v[7:8], v[7:8], off
	s_bitcmp1_b32 s33, 0
	s_mov_b32 s31, 0x3f811111
	s_cselect_b32 s33, -1, 0
	s_mov_b32 s35, 0x3fc55555
	v_mad_u64_u32 v[13:14], null, v1, s7, v[12:13]
	s_mov_b32 s6, 0xfefa39ef
	s_mov_b32 s7, 0xbfe62e42
	s_mov_b32 s37, 0x3fe00000
	s_lshl_b64 s[18:19], s[18:19], 3
	s_lshl_b64 s[12:13], s[12:13], 3
	s_delay_alu instid0(VALU_DEP_1) | instskip(SKIP_1) | instid1(VALU_DEP_2)
	v_mov_b32_e32 v12, v13
	v_mad_u64_u32 v[13:14], null, v1, s16, 0
	v_lshlrev_b64 v[11:12], 3, v[11:12]
	s_delay_alu instid0(VALU_DEP_1) | instskip(NEXT) | instid1(VALU_DEP_2)
	v_add_co_u32 v11, vcc_lo, s4, v11
	v_add_co_ci_u32_e32 v12, vcc_lo, s5, v12, vcc_lo
	v_add_co_u32 v17, vcc_lo, s26, v9
	v_add_co_ci_u32_e32 v18, vcc_lo, s27, v10, vcc_lo
	global_load_b64 v[11:12], v[11:12], off
	s_waitcnt vmcnt(2)
	v_cmp_lt_i64_e32 vcc_lo, v[3:4], v[5:6]
	v_mul_lo_u32 v6, v4, s14
	v_mad_u64_u32 v[4:5], null, v3, s14, 0
	v_mov_b32_e32 v3, v14
	s_mov_b32 s4, 0x652b82fe
	s_mov_b32 s14, 0x6a5dcb37
	;; [unrolled: 1-line block ×5, first 2 shown]
	s_delay_alu instid0(VALU_DEP_2)
	v_mad_u64_u32 v[9:10], null, v1, s17, v[3:4]
	v_add3_u32 v5, v5, v19, v6
	v_lshlrev_b64 v[0:1], 3, v[15:16]
	s_mov_b32 s16, 0x555502a1
	s_mov_b32 s27, 0x3f56c16c
	;; [unrolled: 1-line block ×3, first 2 shown]
	v_lshlrev_b64 v[2:3], 3, v[4:5]
	s_delay_alu instid0(VALU_DEP_4) | instskip(SKIP_1) | instid1(VALU_DEP_1)
	v_mov_b32_e32 v14, v9
	v_add_co_u32 v0, s1, v17, v0
	v_add_co_ci_u32_e64 v1, s1, v18, v1, s1
	s_delay_alu instid0(VALU_DEP_3) | instskip(SKIP_1) | instid1(VALU_DEP_1)
	v_lshlrev_b64 v[4:5], 3, v[13:14]
	s_waitcnt lgkmcnt(0)
	v_add_co_u32 v4, s1, s2, v4
	s_delay_alu instid0(VALU_DEP_1) | instskip(SKIP_1) | instid1(VALU_DEP_2)
	v_add_co_ci_u32_e64 v5, s1, s3, v5, s1
	s_xor_b32 s2, s33, -1
	v_add_co_u32 v2, s1, v4, v2
	s_delay_alu instid0(VALU_DEP_1) | instskip(SKIP_2) | instid1(VALU_DEP_1)
	v_add_co_ci_u32_e64 v3, s1, v5, v3, s1
	s_waitcnt vmcnt(1)
	v_cmp_neq_f64_e64 s0, 0x7ff00000, v[7:8]
	s_or_b32 s0, s2, s0
	s_delay_alu instid0(SALU_CYCLE_1)
	s_and_b32 s3, vcc_lo, s0
	s_branch .LBB6_13
.LBB6_12:                               ;   in Loop: Header=BB6_13 Depth=1
	s_or_b32 exec_lo, exec_lo, s33
	v_add_co_u32 v2, vcc_lo, v2, s18
	v_add_co_ci_u32_e32 v3, vcc_lo, s19, v3, vcc_lo
	global_store_b64 v[0:1], v[4:5], off
	v_add_co_u32 v0, vcc_lo, v0, s12
	s_add_u32 s28, s28, -1
	v_add_co_ci_u32_e32 v1, vcc_lo, s13, v1, vcc_lo
	s_addc_u32 s29, s29, -1
	s_delay_alu instid0(SALU_CYCLE_1)
	s_cmp_lg_u64 s[28:29], 0
	s_cbranch_scc0 .LBB6_15
.LBB6_13:                               ; =>This Inner Loop Header: Depth=1
	v_mov_b32_e32 v4, 0
	v_mov_b32_e32 v5, 0
	s_and_saveexec_b32 s33, s3
	s_cbranch_execz .LBB6_12
; %bb.14:                               ;   in Loop: Header=BB6_13 Depth=1
	global_load_b64 v[4:5], v[0:1], off
	global_load_b64 v[9:10], v[2:3], off
	s_waitcnt vmcnt(1)
	v_add_f64 v[4:5], v[7:8], v[4:5]
	s_waitcnt vmcnt(0)
	v_mul_f64 v[13:14], v[9:10], s[4:5]
	v_cmp_nlt_f64_e32 vcc_lo, 0x40900000, v[9:10]
	v_cmp_ngt_f64_e64 s0, 0xc090cc00, v[9:10]
	s_delay_alu instid0(VALU_DEP_4) | instskip(NEXT) | instid1(VALU_DEP_4)
	v_add_f64 v[4:5], v[4:5], -v[9:10]
	v_rndne_f64_e32 v[13:14], v[13:14]
	s_delay_alu instid0(VALU_DEP_2) | instskip(NEXT) | instid1(VALU_DEP_2)
	v_mul_f64 v[15:16], v[4:5], s[4:5]
	v_fma_f64 v[17:18], v[13:14], s[6:7], v[9:10]
	v_cvt_i32_f64_e32 v6, v[13:14]
	v_cmp_nlt_f64_e64 s1, 0x40900000, v[4:5]
	v_cmp_ngt_f64_e64 s2, 0xc090cc00, v[4:5]
	v_rndne_f64_e32 v[15:16], v[15:16]
	v_fma_f64 v[17:18], v[13:14], s[8:9], v[17:18]
	s_delay_alu instid0(VALU_DEP_2) | instskip(NEXT) | instid1(VALU_DEP_2)
	v_fma_f64 v[19:20], v[15:16], s[6:7], v[4:5]
	v_fma_f64 v[21:22], v[17:18], s[14:15], s[10:11]
	s_delay_alu instid0(VALU_DEP_2) | instskip(NEXT) | instid1(VALU_DEP_2)
	v_fma_f64 v[19:20], v[15:16], s[8:9], v[19:20]
	;; [unrolled: 3-line block ×10, first 2 shown]
	v_fma_f64 v[21:22], v[17:18], v[21:22], 1.0
	s_delay_alu instid0(VALU_DEP_2) | instskip(NEXT) | instid1(VALU_DEP_2)
	v_fma_f64 v[23:24], v[19:20], v[23:24], s[36:37]
	v_fma_f64 v[13:14], v[17:18], v[21:22], 1.0
	v_cvt_i32_f64_e32 v17, v[15:16]
	s_delay_alu instid0(VALU_DEP_3) | instskip(NEXT) | instid1(VALU_DEP_3)
	v_fma_f64 v[23:24], v[19:20], v[23:24], 1.0
	v_ldexp_f64 v[13:14], v[13:14], v6
	s_delay_alu instid0(VALU_DEP_2) | instskip(NEXT) | instid1(VALU_DEP_2)
	v_fma_f64 v[15:16], v[19:20], v[23:24], 1.0
	v_cndmask_b32_e32 v6, 0x7ff00000, v14, vcc_lo
	s_and_b32 vcc_lo, s0, vcc_lo
	s_delay_alu instid0(VALU_DEP_1) | instskip(NEXT) | instid1(VALU_DEP_3)
	v_cndmask_b32_e64 v5, 0, v6, s0
	v_ldexp_f64 v[15:16], v[15:16], v17
	v_cndmask_b32_e32 v4, 0, v13, vcc_lo
	s_and_b32 vcc_lo, s2, s1
	s_delay_alu instid0(VALU_DEP_2) | instskip(NEXT) | instid1(VALU_DEP_1)
	v_cndmask_b32_e64 v9, 0x7ff00000, v16, s1
	v_cndmask_b32_e64 v10, 0, v9, s2
	s_delay_alu instid0(VALU_DEP_4) | instskip(NEXT) | instid1(VALU_DEP_1)
	v_cndmask_b32_e32 v9, 0, v15, vcc_lo
	v_add_f64 v[4:5], v[4:5], -v[9:10]
	s_delay_alu instid0(VALU_DEP_1)
	v_mul_f64 v[4:5], v[11:12], v[4:5]
	s_branch .LBB6_12
.LBB6_15:
	s_nop 0
	s_sendmsg sendmsg(MSG_DEALLOC_VGPRS)
	s_endpgm
	.section	.rodata,"a",@progbits
	.p2align	6, 0x0
	.amdhsa_kernel _ZN2at6native12_GLOBAL__N_136ctc_loss_backward_collect_gpu_kernelIdlEEvPT_PKS3_lS6_S6_S6_PKllPKT0_S8_lS6_llllllllllllS8_llllb
		.amdhsa_group_segment_fixed_size 0
		.amdhsa_private_segment_fixed_size 0
		.amdhsa_kernarg_size 496
		.amdhsa_user_sgpr_count 14
		.amdhsa_user_sgpr_dispatch_ptr 0
		.amdhsa_user_sgpr_queue_ptr 0
		.amdhsa_user_sgpr_kernarg_segment_ptr 1
		.amdhsa_user_sgpr_dispatch_id 0
		.amdhsa_user_sgpr_private_segment_size 0
		.amdhsa_wavefront_size32 1
		.amdhsa_uses_dynamic_stack 0
		.amdhsa_enable_private_segment 0
		.amdhsa_system_sgpr_workgroup_id_x 1
		.amdhsa_system_sgpr_workgroup_id_y 1
		.amdhsa_system_sgpr_workgroup_id_z 0
		.amdhsa_system_sgpr_workgroup_info 0
		.amdhsa_system_vgpr_workitem_id 1
		.amdhsa_next_free_vgpr 47
		.amdhsa_next_free_sgpr 86
		.amdhsa_reserve_vcc 1
		.amdhsa_float_round_mode_32 0
		.amdhsa_float_round_mode_16_64 0
		.amdhsa_float_denorm_mode_32 3
		.amdhsa_float_denorm_mode_16_64 3
		.amdhsa_dx10_clamp 1
		.amdhsa_ieee_mode 1
		.amdhsa_fp16_overflow 0
		.amdhsa_workgroup_processor_mode 1
		.amdhsa_memory_ordered 1
		.amdhsa_forward_progress 0
		.amdhsa_shared_vgpr_count 0
		.amdhsa_exception_fp_ieee_invalid_op 0
		.amdhsa_exception_fp_denorm_src 0
		.amdhsa_exception_fp_ieee_div_zero 0
		.amdhsa_exception_fp_ieee_overflow 0
		.amdhsa_exception_fp_ieee_underflow 0
		.amdhsa_exception_fp_ieee_inexact 0
		.amdhsa_exception_int_div_zero 0
	.end_amdhsa_kernel
	.section	.text._ZN2at6native12_GLOBAL__N_136ctc_loss_backward_collect_gpu_kernelIdlEEvPT_PKS3_lS6_S6_S6_PKllPKT0_S8_lS6_llllllllllllS8_llllb,"axG",@progbits,_ZN2at6native12_GLOBAL__N_136ctc_loss_backward_collect_gpu_kernelIdlEEvPT_PKS3_lS6_S6_S6_PKllPKT0_S8_lS6_llllllllllllS8_llllb,comdat
.Lfunc_end6:
	.size	_ZN2at6native12_GLOBAL__N_136ctc_loss_backward_collect_gpu_kernelIdlEEvPT_PKS3_lS6_S6_S6_PKllPKT0_S8_lS6_llllllllllllS8_llllb, .Lfunc_end6-_ZN2at6native12_GLOBAL__N_136ctc_loss_backward_collect_gpu_kernelIdlEEvPT_PKS3_lS6_S6_S6_PKllPKT0_S8_lS6_llllllllllllS8_llllb
                                        ; -- End function
	.section	.AMDGPU.csdata,"",@progbits
; Kernel info:
; codeLenInByte = 3732
; NumSgprs: 88
; NumVgprs: 47
; ScratchSize: 0
; MemoryBound: 0
; FloatMode: 240
; IeeeMode: 1
; LDSByteSize: 0 bytes/workgroup (compile time only)
; SGPRBlocks: 10
; VGPRBlocks: 5
; NumSGPRsForWavesPerEU: 88
; NumVGPRsForWavesPerEU: 47
; Occupancy: 14
; WaveLimiterHint : 1
; COMPUTE_PGM_RSRC2:SCRATCH_EN: 0
; COMPUTE_PGM_RSRC2:USER_SGPR: 14
; COMPUTE_PGM_RSRC2:TRAP_HANDLER: 0
; COMPUTE_PGM_RSRC2:TGID_X_EN: 1
; COMPUTE_PGM_RSRC2:TGID_Y_EN: 1
; COMPUTE_PGM_RSRC2:TGID_Z_EN: 0
; COMPUTE_PGM_RSRC2:TIDIG_COMP_CNT: 1
	.section	.text._ZN2at6native12_GLOBAL__N_130ctc_loss_zero_padded_gradientsIdEEvPT_PKlllllll,"axG",@progbits,_ZN2at6native12_GLOBAL__N_130ctc_loss_zero_padded_gradientsIdEEvPT_PKlllllll,comdat
	.globl	_ZN2at6native12_GLOBAL__N_130ctc_loss_zero_padded_gradientsIdEEvPT_PKlllllll ; -- Begin function _ZN2at6native12_GLOBAL__N_130ctc_loss_zero_padded_gradientsIdEEvPT_PKlllllll
	.p2align	8
	.type	_ZN2at6native12_GLOBAL__N_130ctc_loss_zero_padded_gradientsIdEEvPT_PKlllllll,@function
_ZN2at6native12_GLOBAL__N_130ctc_loss_zero_padded_gradientsIdEEvPT_PKlllllll: ; @_ZN2at6native12_GLOBAL__N_130ctc_loss_zero_padded_gradientsIdEEvPT_PKlllllll
; %bb.0:
	s_load_b32 s2, s[0:1], 0x4c
	v_bfe_u32 v3, v0, 10, 10
	s_clause 0x1
	s_load_b128 s[16:19], s[0:1], 0x30
	s_load_b256 s[4:11], s[0:1], 0x10
	v_and_b32_e32 v5, 0x3ff, v0
	s_waitcnt lgkmcnt(0)
	s_lshr_b32 s3, s2, 16
	s_and_b32 s2, s2, 0xffff
	v_mad_u64_u32 v[1:2], null, s15, s3, v[3:4]
	v_mov_b32_e32 v2, 0
	s_delay_alu instid0(VALU_DEP_1) | instskip(NEXT) | instid1(VALU_DEP_3)
	v_mov_b32_e32 v6, v2
	v_cmp_gt_i64_e32 vcc_lo, s[16:17], v[1:2]
	s_delay_alu instid0(VALU_DEP_2) | instskip(NEXT) | instid1(VALU_DEP_1)
	v_mad_u64_u32 v[3:4], null, s2, s14, v[5:6]
	v_cmp_gt_i64_e64 s2, s[10:11], v[3:4]
	s_delay_alu instid0(VALU_DEP_1) | instskip(NEXT) | instid1(SALU_CYCLE_1)
	s_and_b32 s2, vcc_lo, s2
	s_and_saveexec_b32 s3, s2
	s_cbranch_execz .LBB7_4
; %bb.1:
	s_load_b64 s[2:3], s[0:1], 0x8
	v_lshlrev_b64 v[5:6], 3, v[1:2]
	v_cvt_f64_u32_e32 v[8:9], v4
	v_cvt_f64_u32_e32 v[10:11], v3
	v_cmp_gt_i64_e64 s10, s[18:19], 0
	s_waitcnt lgkmcnt(0)
	s_delay_alu instid0(VALU_DEP_4)
	v_add_co_u32 v5, vcc_lo, s2, v5
	v_add_co_ci_u32_e32 v6, vcc_lo, s3, v6, vcc_lo
	s_mov_b64 s[2:3], 0
	global_load_b64 v[5:6], v[5:6], off
	s_waitcnt vmcnt(0)
	v_cvt_f64_i32_e32 v[6:7], v6
	v_cvt_f64_u32_e32 v[12:13], v5
	s_delay_alu instid0(VALU_DEP_2) | instskip(SKIP_1) | instid1(VALU_DEP_2)
	v_ldexp_f64 v[5:6], v[6:7], 32
	v_ldexp_f64 v[7:8], v[8:9], 32
	v_add_f64 v[5:6], v[5:6], v[12:13]
	s_delay_alu instid0(VALU_DEP_2) | instskip(NEXT) | instid1(VALU_DEP_1)
	v_add_f64 v[7:8], v[7:8], v[10:11]
	v_cmp_ge_f64_e32 vcc_lo, v[7:8], v[5:6]
	s_and_b32 s10, vcc_lo, s10
	s_delay_alu instid0(SALU_CYCLE_1)
	s_and_b32 exec_lo, exec_lo, s10
	s_cbranch_execz .LBB7_4
; %bb.2:
	v_mad_u64_u32 v[5:6], null, v1, s6, 0
	s_load_b64 s[0:1], s[0:1], 0x0
	v_mul_lo_u32 v4, v4, s4
	v_mul_lo_u32 v9, v3, s5
	v_mad_u64_u32 v[7:8], null, v3, s4, 0
	s_delay_alu instid0(VALU_DEP_4) | instskip(NEXT) | instid1(VALU_DEP_2)
	v_mov_b32_e32 v0, v6
	v_add3_u32 v8, v8, v9, v4
	s_delay_alu instid0(VALU_DEP_2) | instskip(NEXT) | instid1(VALU_DEP_2)
	v_mad_u64_u32 v[2:3], null, v1, s7, v[0:1]
	v_lshlrev_b64 v[0:1], 3, v[7:8]
	s_waitcnt lgkmcnt(0)
	s_delay_alu instid0(VALU_DEP_1) | instskip(SKIP_1) | instid1(VALU_DEP_4)
	v_add_co_u32 v4, vcc_lo, s0, v0
	v_mov_b32_e32 v0, 0
	v_mov_b32_e32 v6, v2
	s_delay_alu instid0(VALU_DEP_4) | instskip(SKIP_1) | instid1(VALU_DEP_2)
	v_add_co_ci_u32_e32 v1, vcc_lo, s1, v1, vcc_lo
	s_lshl_b64 s[0:1], s[8:9], 3
	v_lshlrev_b64 v[2:3], 3, v[5:6]
	s_delay_alu instid0(VALU_DEP_1) | instskip(NEXT) | instid1(VALU_DEP_2)
	v_add_co_u32 v2, vcc_lo, v4, v2
	v_add_co_ci_u32_e32 v3, vcc_lo, v1, v3, vcc_lo
	v_mov_b32_e32 v1, v0
.LBB7_3:                                ; =>This Inner Loop Header: Depth=1
	s_add_u32 s2, s2, 1
	s_addc_u32 s3, s3, 0
	global_store_b64 v[2:3], v[0:1], off
	v_cmp_lt_i64_e64 s4, s[2:3], s[18:19]
	v_add_co_u32 v2, vcc_lo, v2, s0
	v_add_co_ci_u32_e32 v3, vcc_lo, s1, v3, vcc_lo
	s_delay_alu instid0(VALU_DEP_3)
	s_and_b32 vcc_lo, exec_lo, s4
	s_cbranch_vccnz .LBB7_3
.LBB7_4:
	s_nop 0
	s_sendmsg sendmsg(MSG_DEALLOC_VGPRS)
	s_endpgm
	.section	.rodata,"a",@progbits
	.p2align	6, 0x0
	.amdhsa_kernel _ZN2at6native12_GLOBAL__N_130ctc_loss_zero_padded_gradientsIdEEvPT_PKlllllll
		.amdhsa_group_segment_fixed_size 0
		.amdhsa_private_segment_fixed_size 0
		.amdhsa_kernarg_size 320
		.amdhsa_user_sgpr_count 14
		.amdhsa_user_sgpr_dispatch_ptr 0
		.amdhsa_user_sgpr_queue_ptr 0
		.amdhsa_user_sgpr_kernarg_segment_ptr 1
		.amdhsa_user_sgpr_dispatch_id 0
		.amdhsa_user_sgpr_private_segment_size 0
		.amdhsa_wavefront_size32 1
		.amdhsa_uses_dynamic_stack 0
		.amdhsa_enable_private_segment 0
		.amdhsa_system_sgpr_workgroup_id_x 1
		.amdhsa_system_sgpr_workgroup_id_y 1
		.amdhsa_system_sgpr_workgroup_id_z 0
		.amdhsa_system_sgpr_workgroup_info 0
		.amdhsa_system_vgpr_workitem_id 1
		.amdhsa_next_free_vgpr 14
		.amdhsa_next_free_sgpr 20
		.amdhsa_reserve_vcc 1
		.amdhsa_float_round_mode_32 0
		.amdhsa_float_round_mode_16_64 0
		.amdhsa_float_denorm_mode_32 3
		.amdhsa_float_denorm_mode_16_64 3
		.amdhsa_dx10_clamp 1
		.amdhsa_ieee_mode 1
		.amdhsa_fp16_overflow 0
		.amdhsa_workgroup_processor_mode 1
		.amdhsa_memory_ordered 1
		.amdhsa_forward_progress 0
		.amdhsa_shared_vgpr_count 0
		.amdhsa_exception_fp_ieee_invalid_op 0
		.amdhsa_exception_fp_denorm_src 0
		.amdhsa_exception_fp_ieee_div_zero 0
		.amdhsa_exception_fp_ieee_overflow 0
		.amdhsa_exception_fp_ieee_underflow 0
		.amdhsa_exception_fp_ieee_inexact 0
		.amdhsa_exception_int_div_zero 0
	.end_amdhsa_kernel
	.section	.text._ZN2at6native12_GLOBAL__N_130ctc_loss_zero_padded_gradientsIdEEvPT_PKlllllll,"axG",@progbits,_ZN2at6native12_GLOBAL__N_130ctc_loss_zero_padded_gradientsIdEEvPT_PKlllllll,comdat
.Lfunc_end7:
	.size	_ZN2at6native12_GLOBAL__N_130ctc_loss_zero_padded_gradientsIdEEvPT_PKlllllll, .Lfunc_end7-_ZN2at6native12_GLOBAL__N_130ctc_loss_zero_padded_gradientsIdEEvPT_PKlllllll
                                        ; -- End function
	.section	.AMDGPU.csdata,"",@progbits
; Kernel info:
; codeLenInByte = 456
; NumSgprs: 22
; NumVgprs: 14
; ScratchSize: 0
; MemoryBound: 0
; FloatMode: 240
; IeeeMode: 1
; LDSByteSize: 0 bytes/workgroup (compile time only)
; SGPRBlocks: 2
; VGPRBlocks: 1
; NumSGPRsForWavesPerEU: 22
; NumVGPRsForWavesPerEU: 14
; Occupancy: 14
; WaveLimiterHint : 0
; COMPUTE_PGM_RSRC2:SCRATCH_EN: 0
; COMPUTE_PGM_RSRC2:USER_SGPR: 14
; COMPUTE_PGM_RSRC2:TRAP_HANDLER: 0
; COMPUTE_PGM_RSRC2:TGID_X_EN: 1
; COMPUTE_PGM_RSRC2:TGID_Y_EN: 1
; COMPUTE_PGM_RSRC2:TGID_Z_EN: 0
; COMPUTE_PGM_RSRC2:TIDIG_COMP_CNT: 1
	.section	.text._ZN2at6native12_GLOBAL__N_137ctc_loss_backward_log_beta_gpu_kernelIdiEEvPT_PKS3_PKllPKT0_S8_lllllllS8_lll,"axG",@progbits,_ZN2at6native12_GLOBAL__N_137ctc_loss_backward_log_beta_gpu_kernelIdiEEvPT_PKS3_PKllPKT0_S8_lllllllS8_lll,comdat
	.globl	_ZN2at6native12_GLOBAL__N_137ctc_loss_backward_log_beta_gpu_kernelIdiEEvPT_PKS3_PKllPKT0_S8_lllllllS8_lll ; -- Begin function _ZN2at6native12_GLOBAL__N_137ctc_loss_backward_log_beta_gpu_kernelIdiEEvPT_PKS3_PKllPKT0_S8_lllllllS8_lll
	.p2align	8
	.type	_ZN2at6native12_GLOBAL__N_137ctc_loss_backward_log_beta_gpu_kernelIdiEEvPT_PKS3_PKllPKT0_S8_lllllllS8_lll,@function
_ZN2at6native12_GLOBAL__N_137ctc_loss_backward_log_beta_gpu_kernelIdiEEvPT_PKS3_PKllPKT0_S8_lllllllS8_lll: ; @_ZN2at6native12_GLOBAL__N_137ctc_loss_backward_log_beta_gpu_kernelIdiEEvPT_PKS3_PKllPKT0_S8_lllllllS8_lll
; %bb.0:
	s_clause 0x1
	s_load_b32 s4, s[0:1], 0x94
	s_load_b128 s[20:23], s[0:1], 0x70
	v_bfe_u32 v1, v0, 10, 10
	s_add_u32 s2, s0, 0x88
	s_addc_u32 s3, s1, 0
	s_waitcnt lgkmcnt(0)
	s_lshr_b32 s4, s4, 16
	s_delay_alu instid0(SALU_CYCLE_1) | instskip(SKIP_2) | instid1(VALU_DEP_1)
	v_mad_u64_u32 v[11:12], null, s15, s4, v[1:2]
	v_mov_b32_e32 v12, 0
	s_mov_b32 s4, exec_lo
	v_cmpx_gt_i64_e64 s[22:23], v[11:12]
	s_cbranch_execz .LBB8_43
; %bb.1:
	s_load_b64 s[4:5], s[0:1], 0x10
	v_lshlrev_b64 v[3:4], 3, v[11:12]
	s_waitcnt lgkmcnt(0)
	s_delay_alu instid0(VALU_DEP_1) | instskip(NEXT) | instid1(VALU_DEP_2)
	v_add_co_u32 v1, vcc_lo, s4, v3
	v_add_co_ci_u32_e32 v2, vcc_lo, s5, v4, vcc_lo
	global_load_b64 v[1:2], v[1:2], off
	s_waitcnt vmcnt(0)
	v_cmp_ne_u64_e32 vcc_lo, 0, v[1:2]
	s_and_b32 exec_lo, exec_lo, vcc_lo
	s_cbranch_execz .LBB8_43
; %bb.2:
	s_clause 0x1
	s_load_b64 s[4:5], s[0:1], 0x28
	s_load_b64 s[6:7], s[0:1], 0x68
	s_waitcnt lgkmcnt(0)
	v_add_co_u32 v5, vcc_lo, s4, v3
	v_add_co_ci_u32_e32 v6, vcc_lo, s5, v4, vcc_lo
	v_add_co_u32 v3, vcc_lo, s6, v3
	v_add_co_ci_u32_e32 v4, vcc_lo, s7, v4, vcc_lo
	global_load_b64 v[13:14], v[5:6], off
	global_load_b64 v[5:6], v[3:4], off
	s_load_b256 s[4:11], s[0:1], 0x30
	s_load_b32 s2, s[2:3], 0xc
	s_waitcnt lgkmcnt(0)
	s_lshl_b64 s[22:23], s[4:5], 1
	s_mov_b32 s4, 0
	s_mov_b32 s5, s23
	s_and_b32 s33, s2, 0xffff
	s_cmp_lg_u64 s[4:5], 0
	s_cbranch_scc0 .LBB8_44
; %bb.3:
	v_cvt_f32_ubyte0_e32 v3, 0
	v_cvt_f32_u32_e32 v4, s33
	s_sub_u32 s5, 0, s33
	s_subb_u32 s12, 0, 0
	s_delay_alu instid0(VALU_DEP_1) | instskip(NEXT) | instid1(VALU_DEP_1)
	v_fmamk_f32 v3, v3, 0x4f800000, v4
	v_rcp_f32_e32 v3, v3
	s_waitcnt_depctr 0xfff
	v_mul_f32_e32 v3, 0x5f7ffffc, v3
	s_delay_alu instid0(VALU_DEP_1) | instskip(NEXT) | instid1(VALU_DEP_1)
	v_mul_f32_e32 v4, 0x2f800000, v3
	v_trunc_f32_e32 v4, v4
	s_delay_alu instid0(VALU_DEP_1) | instskip(SKIP_1) | instid1(VALU_DEP_2)
	v_fmamk_f32 v3, v4, 0xcf800000, v3
	v_cvt_u32_f32_e32 v4, v4
	v_cvt_u32_f32_e32 v3, v3
	s_delay_alu instid0(VALU_DEP_2) | instskip(NEXT) | instid1(VALU_DEP_2)
	v_readfirstlane_b32 s2, v4
	v_readfirstlane_b32 s3, v3
	s_delay_alu instid0(VALU_DEP_2) | instskip(NEXT) | instid1(VALU_DEP_1)
	s_mul_i32 s13, s5, s2
	s_mul_hi_u32 s15, s5, s3
	s_mul_i32 s14, s12, s3
	s_add_i32 s13, s15, s13
	s_mul_i32 s16, s5, s3
	s_add_i32 s13, s13, s14
	s_mul_hi_u32 s15, s3, s16
	s_mul_hi_u32 s17, s2, s16
	s_mul_i32 s14, s2, s16
	s_mul_hi_u32 s16, s3, s13
	s_mul_i32 s3, s3, s13
	s_mul_hi_u32 s18, s2, s13
	s_add_u32 s3, s15, s3
	s_addc_u32 s15, 0, s16
	s_add_u32 s3, s3, s14
	s_mul_i32 s13, s2, s13
	s_addc_u32 s3, s15, s17
	s_addc_u32 s14, s18, 0
	s_add_u32 s3, s3, s13
	s_addc_u32 s13, 0, s14
	v_add_co_u32 v3, s3, v3, s3
	s_delay_alu instid0(VALU_DEP_1) | instskip(SKIP_1) | instid1(VALU_DEP_1)
	s_cmp_lg_u32 s3, 0
	s_addc_u32 s2, s2, s13
	v_readfirstlane_b32 s3, v3
	s_mul_i32 s13, s5, s2
	s_delay_alu instid0(VALU_DEP_1)
	s_mul_hi_u32 s14, s5, s3
	s_mul_i32 s12, s12, s3
	s_add_i32 s13, s14, s13
	s_mul_i32 s5, s5, s3
	s_add_i32 s13, s13, s12
	s_mul_hi_u32 s14, s2, s5
	s_mul_i32 s15, s2, s5
	s_mul_hi_u32 s5, s3, s5
	s_mul_hi_u32 s16, s3, s13
	s_mul_i32 s3, s3, s13
	s_mul_hi_u32 s12, s2, s13
	s_add_u32 s3, s5, s3
	s_addc_u32 s5, 0, s16
	s_add_u32 s3, s3, s15
	s_mul_i32 s13, s2, s13
	s_addc_u32 s3, s5, s14
	s_addc_u32 s5, s12, 0
	s_add_u32 s3, s3, s13
	s_addc_u32 s5, 0, s5
	v_add_co_u32 v3, s3, v3, s3
	s_delay_alu instid0(VALU_DEP_1) | instskip(SKIP_2) | instid1(VALU_DEP_1)
	s_cmp_lg_u32 s3, 0
	s_addc_u32 s5, s2, s5
	s_ashr_i32 s12, s23, 31
	v_readfirstlane_b32 s14, v3
	s_add_u32 s2, s22, s12
	s_mov_b32 s13, s12
	s_addc_u32 s3, s23, s12
	s_delay_alu instid0(SALU_CYCLE_1) | instskip(NEXT) | instid1(SALU_CYCLE_1)
	s_xor_b64 s[2:3], s[2:3], s[12:13]
	s_mul_i32 s15, s2, s5
	s_mul_hi_u32 s16, s2, s14
	s_mul_hi_u32 s13, s2, s5
	;; [unrolled: 1-line block ×3, first 2 shown]
	s_mul_i32 s14, s3, s14
	s_add_u32 s15, s16, s15
	s_addc_u32 s13, 0, s13
	s_mul_hi_u32 s17, s3, s5
	s_add_u32 s14, s15, s14
	s_mul_i32 s5, s3, s5
	s_addc_u32 s13, s13, s18
	s_addc_u32 s14, s17, 0
	s_add_u32 s5, s13, s5
	s_addc_u32 s13, 0, s14
	s_mul_hi_u32 s14, s33, s5
	s_mul_i32 s5, s33, s5
	s_mul_i32 s13, s33, s13
	v_sub_co_u32 v3, s2, s2, s5
	s_add_i32 s14, s14, s13
	s_cmp_lg_u32 s2, 0
	s_delay_alu instid0(VALU_DEP_1) | instskip(SKIP_2) | instid1(VALU_DEP_1)
	v_sub_co_u32 v4, s2, v3, s33
	s_subb_u32 s3, s3, s14
	s_cmp_lg_u32 s2, 0
	v_cmp_le_u32_e32 vcc_lo, s33, v4
	v_sub_co_u32 v7, s2, v4, s33
	s_subb_u32 s5, s3, 0
	s_cmp_lg_u32 s2, 0
	v_cndmask_b32_e64 v8, 0, -1, vcc_lo
	s_subb_u32 s2, s5, 0
	s_cmp_eq_u32 s5, 0
	v_mov_b32_e32 v10, s2
	s_cselect_b32 vcc_lo, -1, 0
	s_cmp_eq_u32 s3, 0
	v_cndmask_b32_e32 v8, -1, v8, vcc_lo
	v_cmp_le_u32_e32 vcc_lo, s33, v3
	s_cselect_b32 s2, -1, 0
	v_cndmask_b32_e64 v9, 0, -1, vcc_lo
	s_delay_alu instid0(VALU_DEP_3) | instskip(NEXT) | instid1(VALU_DEP_2)
	v_cmp_ne_u32_e32 vcc_lo, 0, v8
	v_cndmask_b32_e64 v8, -1, v9, s2
	v_cndmask_b32_e32 v9, s5, v10, vcc_lo
	v_cndmask_b32_e32 v4, v4, v7, vcc_lo
	s_delay_alu instid0(VALU_DEP_3) | instskip(NEXT) | instid1(VALU_DEP_2)
	v_cmp_ne_u32_e32 vcc_lo, 0, v8
	v_cndmask_b32_e32 v3, v3, v4, vcc_lo
	s_delay_alu instid0(VALU_DEP_4) | instskip(NEXT) | instid1(VALU_DEP_2)
	v_cndmask_b32_e32 v7, s3, v9, vcc_lo
	v_xor_b32_e32 v3, s12, v3
	s_delay_alu instid0(VALU_DEP_2) | instskip(NEXT) | instid1(VALU_DEP_2)
	v_xor_b32_e32 v4, s12, v7
	v_sub_co_u32 v15, vcc_lo, v3, s12
	s_delay_alu instid0(VALU_DEP_2)
	v_subrev_co_ci_u32_e32 v16, vcc_lo, s12, v4, vcc_lo
	s_and_not1_b32 vcc_lo, exec_lo, s4
	s_cbranch_vccnz .LBB8_5
.LBB8_4:
	v_cvt_f32_u32_e32 v3, s33
	s_sub_i32 s3, 0, s33
	s_delay_alu instid0(VALU_DEP_1) | instskip(SKIP_2) | instid1(VALU_DEP_1)
	v_rcp_iflag_f32_e32 v3, v3
	s_waitcnt_depctr 0xfff
	v_mul_f32_e32 v3, 0x4f7ffffe, v3
	v_cvt_u32_f32_e32 v3, v3
	s_delay_alu instid0(VALU_DEP_1) | instskip(NEXT) | instid1(VALU_DEP_1)
	v_readfirstlane_b32 s2, v3
	s_mul_i32 s3, s3, s2
	s_delay_alu instid0(SALU_CYCLE_1) | instskip(NEXT) | instid1(SALU_CYCLE_1)
	s_mul_hi_u32 s3, s2, s3
	s_add_i32 s2, s2, s3
	s_delay_alu instid0(SALU_CYCLE_1) | instskip(NEXT) | instid1(SALU_CYCLE_1)
	s_mul_hi_u32 s2, s22, s2
	s_mul_i32 s2, s2, s33
	s_delay_alu instid0(SALU_CYCLE_1) | instskip(NEXT) | instid1(SALU_CYCLE_1)
	s_sub_i32 s2, s22, s2
	s_sub_i32 s3, s2, s33
	s_cmp_ge_u32 s2, s33
	s_cselect_b32 s2, s3, s2
	s_mov_b32 s3, 0
	s_sub_i32 s4, s2, s33
	s_cmp_ge_u32 s2, s33
	s_cselect_b32 s2, s4, s2
	s_delay_alu instid0(SALU_CYCLE_1)
	v_dual_mov_b32 v16, s3 :: v_dual_mov_b32 v15, s2
.LBB8_5:
	s_delay_alu instid0(VALU_DEP_1) | instskip(NEXT) | instid1(VALU_DEP_2)
	v_sub_co_u32 v3, vcc_lo, s22, v15
	v_sub_co_ci_u32_e32 v4, vcc_lo, s23, v16, vcc_lo
	s_delay_alu instid0(VALU_DEP_1)
	v_cmp_gt_i64_e32 vcc_lo, 0, v[3:4]
	s_cbranch_vccnz .LBB8_43
; %bb.6:
	v_mad_u64_u32 v[17:18], null, v11, s8, 0
	s_clause 0x3
	s_load_b64 s[28:29], s[0:1], 0x80
	s_load_b256 s[12:19], s[0:1], 0x50
	s_load_b128 s[24:27], s[0:1], 0x0
	s_load_b64 s[2:3], s[0:1], 0x20
	s_waitcnt vmcnt(0)
	v_lshlrev_b64 v[19:20], 2, v[5:6]
	v_lshlrev_b64 v[5:6], 1, v[13:14]
	v_dual_mov_b32 v7, v18 :: v_dual_and_b32 v0, 0x3ff, v0
	s_delay_alu instid0(VALU_DEP_1) | instskip(SKIP_3) | instid1(VALU_DEP_4)
	v_mad_u64_u32 v[21:22], null, v11, s9, v[7:8]
	v_add_co_u32 v7, vcc_lo, v1, -1
	v_add_co_ci_u32_e32 v8, vcc_lo, -1, v2, vcc_lo
	v_add_co_u32 v9, vcc_lo, v5, -1
	v_mov_b32_e32 v18, v21
	s_delay_alu instid0(VALU_DEP_3)
	v_mul_lo_u32 v12, v8, s6
	v_mul_lo_u32 v24, v7, s7
	v_mad_u64_u32 v[22:23], null, v7, s6, 0
	v_add_co_ci_u32_e32 v10, vcc_lo, -1, v6, vcc_lo
	s_waitcnt lgkmcnt(0)
	v_add_co_u32 v43, vcc_lo, s2, v19
	v_add_co_ci_u32_e32 v44, vcc_lo, s3, v20, vcc_lo
	s_delay_alu instid0(VALU_DEP_4) | instskip(SKIP_1) | instid1(VALU_DEP_1)
	v_add3_u32 v23, v23, v24, v12
	v_add_co_u32 v12, s2, s22, v0
	v_add_co_ci_u32_e64 v19, null, s23, 0, s2
	v_alignbit_b32 v21, v10, v9, 1
	s_delay_alu instid0(VALU_DEP_3) | instskip(SKIP_1) | instid1(VALU_DEP_4)
	v_sub_co_u32 v15, vcc_lo, v12, v15
	v_lshrrev_b32_e32 v20, 1, v10
	v_sub_co_ci_u32_e32 v16, vcc_lo, v19, v16, vcc_lo
	v_mad_u64_u32 v[26:27], null, s12, v11, 0
	v_mul_lo_u32 v30, v21, s21
	v_mad_u64_u32 v[24:25], null, v21, s20, 0
	v_mul_lo_u32 v31, v20, s20
	v_mul_lo_u32 v32, s17, v15
	;; [unrolled: 1-line block ×3, first 2 shown]
	v_mad_u64_u32 v[19:20], null, s16, v15, 0
	v_mul_lo_u32 v34, s15, v7
	v_mul_lo_u32 v35, s14, v8
	v_mad_u64_u32 v[28:29], null, s14, v7, 0
	v_mov_b32_e32 v12, v27
	v_lshlrev_b64 v[17:18], 3, v[17:18]
	v_add3_u32 v20, v20, v33, v32
	v_add3_u32 v25, v25, v30, v31
	v_lshlrev_b64 v[21:22], 3, v[22:23]
	v_mad_u64_u32 v[30:31], null, s13, v11, v[12:13]
	v_add3_u32 v29, v29, v35, v34
	v_add_co_u32 v36, vcc_lo, s26, v17
	v_add_co_ci_u32_e32 v37, vcc_lo, s27, v18, vcc_lo
	v_lshlrev_b64 v[19:20], 3, v[19:20]
	s_delay_alu instid0(VALU_DEP_4) | instskip(NEXT) | instid1(VALU_DEP_4)
	v_lshlrev_b64 v[11:12], 3, v[28:29]
	v_add_co_u32 v35, vcc_lo, v36, v21
	v_mov_b32_e32 v27, v30
	v_add_co_ci_u32_e32 v36, vcc_lo, v37, v22, vcc_lo
	v_lshlrev_b64 v[21:22], 2, v[24:25]
	v_add_co_u32 v23, vcc_lo, v19, v11
	v_add_co_ci_u32_e32 v24, vcc_lo, v20, v12, vcc_lo
	v_lshlrev_b64 v[11:12], 3, v[26:27]
	s_delay_alu instid0(VALU_DEP_4) | instskip(SKIP_2) | instid1(VALU_DEP_3)
	v_add_co_u32 v21, vcc_lo, v43, v21
	v_add_co_ci_u32_e32 v22, vcc_lo, v44, v22, vcc_lo
	s_mul_i32 s2, s17, s33
	v_add_co_u32 v23, vcc_lo, v23, v11
	s_delay_alu instid0(VALU_DEP_4) | instskip(SKIP_1) | instid1(VALU_DEP_2)
	v_add_co_ci_u32_e32 v24, vcc_lo, v24, v12, vcc_lo
	s_mul_hi_u32 s3, s16, s33
	v_add_co_u32 v23, vcc_lo, s24, v23
	s_delay_alu instid0(VALU_DEP_2) | instskip(SKIP_4) | instid1(VALU_DEP_2)
	v_add_co_ci_u32_e32 v24, vcc_lo, s25, v24, vcc_lo
	v_sub_co_u32 v25, vcc_lo, v5, v0
	v_subrev_co_ci_u32_e32 v26, vcc_lo, 0, v6, vcc_lo
	s_add_i32 s3, s3, s2
	s_mul_i32 s2, s16, s33
	v_add_co_u32 v27, vcc_lo, v25, -1
	s_lshl_b64 s[2:3], s[2:3], 3
	v_add_co_ci_u32_e32 v28, vcc_lo, -1, v26, vcc_lo
	v_dual_mov_b32 v30, v4 :: v_dual_mov_b32 v29, v3
	s_sub_u32 s70, 0, s2
	s_subb_u32 s71, 0, s3
	s_branch .LBB8_8
.LBB8_7:                                ;   in Loop: Header=BB8_8 Depth=1
	s_or_b32 exec_lo, exec_lo, s2
	v_sub_co_u32 v29, vcc_lo, v29, s33
	v_subrev_co_ci_u32_e32 v30, vcc_lo, 0, v30, vcc_lo
	v_add_co_u32 v23, s2, v23, s70
	s_delay_alu instid0(VALU_DEP_1) | instskip(NEXT) | instid1(VALU_DEP_3)
	v_add_co_ci_u32_e64 v24, s2, s71, v24, s2
	v_cmp_gt_i64_e32 vcc_lo, 0, v[29:30]
	s_cbranch_vccnz .LBB8_16
.LBB8_8:                                ; =>This Inner Loop Header: Depth=1
	v_dual_mov_b32 v32, s29 :: v_dual_mov_b32 v31, s28
	s_mov_b32 s5, -1
	s_mov_b32 s4, exec_lo
                                        ; implicit-def: $sgpr2_sgpr3
	v_cmpx_ne_u64_e64 v[25:26], v[29:30]
	s_cbranch_execz .LBB8_12
; %bb.9:                                ;   in Loop: Header=BB8_8 Depth=1
	s_mov_b32 s5, 0
	s_mov_b32 s2, exec_lo
                                        ; implicit-def: $vgpr31_vgpr32
	v_cmpx_eq_u64_e64 v[27:28], v[29:30]
	s_cbranch_execz .LBB8_11
; %bb.10:                               ;   in Loop: Header=BB8_8 Depth=1
	global_load_b32 v31, v[21:22], off
	s_mov_b32 s5, exec_lo
	s_waitcnt vmcnt(0)
	v_ashrrev_i32_e32 v32, 31, v31
.LBB8_11:                               ;   in Loop: Header=BB8_8 Depth=1
	s_or_b32 exec_lo, exec_lo, s2
	s_mov_b32 s2, 0
	s_mov_b32 s3, 0xfff00000
	s_or_not1_b32 s5, s5, exec_lo
.LBB8_12:                               ;   in Loop: Header=BB8_8 Depth=1
	s_or_b32 exec_lo, exec_lo, s4
	s_waitcnt vmcnt(0)
	v_dual_mov_b32 v34, s3 :: v_dual_mov_b32 v33, s2
	s_and_saveexec_b32 s2, s5
	s_cbranch_execz .LBB8_14
; %bb.13:                               ;   in Loop: Header=BB8_8 Depth=1
	v_mul_lo_u32 v34, v32, s10
	v_mul_lo_u32 v37, v31, s11
	v_mad_u64_u32 v[32:33], null, v31, s10, 0
	s_delay_alu instid0(VALU_DEP_1) | instskip(NEXT) | instid1(VALU_DEP_1)
	v_add3_u32 v33, v33, v37, v34
	v_lshlrev_b64 v[31:32], 3, v[32:33]
	s_delay_alu instid0(VALU_DEP_1) | instskip(NEXT) | instid1(VALU_DEP_2)
	v_add_co_u32 v31, vcc_lo, v35, v31
	v_add_co_ci_u32_e32 v32, vcc_lo, v36, v32, vcc_lo
	global_load_b64 v[33:34], v[31:32], off
.LBB8_14:                               ;   in Loop: Header=BB8_8 Depth=1
	s_or_b32 exec_lo, exec_lo, s2
	v_add_co_u32 v31, vcc_lo, v0, v29
	v_add_co_ci_u32_e32 v32, vcc_lo, 0, v30, vcc_lo
	s_mov_b32 s2, exec_lo
	s_delay_alu instid0(VALU_DEP_1)
	v_cmpx_ge_i64_e64 s[22:23], v[31:32]
	s_cbranch_execz .LBB8_7
; %bb.15:                               ;   in Loop: Header=BB8_8 Depth=1
	s_waitcnt vmcnt(0)
	global_store_b64 v[23:24], v[33:34], off
	s_branch .LBB8_7
.LBB8_16:
	s_load_b64 s[2:3], s[0:1], 0x18
	v_add_co_u32 v23, vcc_lo, v15, 2
	v_add_co_ci_u32_e32 v21, vcc_lo, 0, v16, vcc_lo
	v_cmp_lt_i64_e64 s0, 0, v[13:14]
	v_cmp_ne_u64_e64 s1, 0, v[13:14]
	v_lshlrev_b64 v[13:14], 3, v[15:16]
	v_mul_lo_u32 v15, s17, v23
	v_mul_lo_u32 v16, s16, v21
	v_mad_u64_u32 v[21:22], null, s16, v23, 0
	s_mov_b32 s34, 0x7c89e6b0
	s_delay_alu instid0(VALU_DEP_4) | instskip(SKIP_2) | instid1(VALU_DEP_3)
	v_add_co_u32 v23, vcc_lo, v13, 8
	v_add_co_ci_u32_e32 v13, vcc_lo, 0, v14, vcc_lo
	s_mov_b32 s36, 0x14761f6e
	v_add3_u32 v22, v22, v16, v15
	s_delay_alu instid0(VALU_DEP_3)
	v_mul_lo_u32 v25, s17, v23
	s_waitcnt lgkmcnt(0)
	s_add_u32 s12, s2, -2
	s_addc_u32 s13, s3, -1
	s_mul_hi_u32 s4, s14, s12
	s_mul_i32 s5, s14, s13
	s_mul_i32 s8, s15, s12
	s_add_i32 s5, s4, s5
	s_mul_i32 s4, s14, s12
	s_add_i32 s5, s5, s8
	s_mul_hi_u32 s8, s6, s12
	s_lshl_b64 s[4:5], s[4:5], 3
	s_mul_i32 s30, s6, s13
	s_add_u32 s18, s24, s4
	s_addc_u32 s19, s25, s5
	s_lshl_b64 s[4:5], s[14:15], 3
	s_mul_i32 s9, s7, s12
	s_sub_u32 s72, 0, s4
	s_subb_u32 s73, 0, s5
	s_add_i32 s5, s8, s30
	s_mul_i32 s4, s6, s12
	s_add_i32 s5, s5, s9
	v_cmp_gt_i64_e64 s76, s[2:3], 1
	s_lshl_b64 s[4:5], s[4:5], 3
	v_add_co_u32 v15, vcc_lo, s18, v19
	s_add_u32 s8, s26, s4
	s_addc_u32 s9, s27, s5
	s_lshl_b64 s[4:5], s[6:7], 3
	s_lshl_b64 s[10:11], s[10:11], 3
	s_sub_u32 s74, 0, s4
	s_subb_u32 s75, 0, s5
	s_add_u32 s4, s2, -1
	s_addc_u32 s5, s3, -1
	s_mul_hi_u32 s6, s14, s4
	s_mul_i32 s5, s14, s5
	s_mul_i32 s7, s15, s4
	s_add_i32 s5, s6, s5
	s_mul_i32 s4, s14, s4
	s_add_i32 s5, s5, s7
	v_add_co_ci_u32_e32 v16, vcc_lo, s19, v20, vcc_lo
	s_lshl_b64 s[4:5], s[4:5], 3
	v_mul_lo_u32 v24, s16, v13
	s_add_u32 s2, s24, s4
	s_addc_u32 s3, s25, s5
	v_add_co_u32 v17, vcc_lo, s8, v17
	v_mad_u64_u32 v[13:14], null, s16, v23, s[2:3]
	v_lshlrev_b64 v[21:22], 3, v[21:22]
	v_add_co_ci_u32_e32 v18, vcc_lo, s9, v18, vcc_lo
	v_add_co_u32 v19, vcc_lo, s2, v19
	v_add_co_ci_u32_e32 v20, vcc_lo, s3, v20, vcc_lo
	s_delay_alu instid0(VALU_DEP_4)
	v_add_co_u32 v21, vcc_lo, s2, v21
	v_add3_u32 v14, v25, v14, v24
	v_add_co_ci_u32_e32 v22, vcc_lo, s3, v22, vcc_lo
	v_mov_b32_e32 v23, 0
	s_mov_b32 s14, 0x652b82fe
	s_mov_b32 s16, 0xfefa39ef
	s_mov_b32 s18, 0x3b39803f
	s_mov_b32 s24, 0xfca7ab0c
	s_mov_b32 s26, 0x6a5dcb37
	s_mov_b32 s30, 0x623fde64
	s_mov_b32 s38, 0x1852b7b0
	s_mov_b32 s40, 0x11122322
	s_mov_b32 s42, 0x555502a1
	s_mov_b32 s44, 0x55555511
	s_mov_b32 s46, 11
	s_mov_b32 s48, 0x55555555
	s_mov_b32 s50, 0x6b47b09a
	s_mov_b32 s52, 0xbf559e2b
	s_mov_b32 s54, 0xd7f4df2e
	s_mov_b32 s56, 0x16291751
	s_mov_b32 s58, 0x9b27acf1
	s_mov_b32 s60, 0x998ef7b6
	s_mov_b32 s15, 0x3ff71547
	s_mov_b32 s17, 0xbfe62e42
	s_mov_b32 s19, 0xbc7abc9e
	s_mov_b32 s25, 0x3e928af3
	s_mov_b32 s27, 0x3e5ade15
	s_mov_b32 s31, 0x3ec71dee
	s_mov_b32 s35, 0x3efa0199
	s_mov_b32 s37, 0x3f2a01a0
	s_mov_b32 s39, 0x3f56c16c
	s_mov_b32 s41, 0x3f811111
	s_mov_b32 s43, 0x3fa55555
	s_mov_b32 s45, 0x3fc55555
	s_mov_b32 s47, 0x3fe00000
	s_mov_b32 s49, 0x3fe55555
	s_mov_b32 s51, 0x3fc38538
	s_mov_b32 s53, 0x3fc3ab76
	s_mov_b32 s55, 0x3fc7474d
	s_mov_b32 s57, 0x3fcc71c0
	s_mov_b32 s59, 0x3fd24924
	s_mov_b32 s61, 0x3fd99999
	s_mov_b32 s62, 0x55555780
	s_mov_b32 s65, 0x3fe62e42
	s_mov_b32 s67, 0x3c7abc9e
	s_branch .LBB8_18
.LBB8_17:                               ;   in Loop: Header=BB8_18 Depth=1
	v_sub_co_u32 v3, vcc_lo, v3, s33
	v_subrev_co_ci_u32_e32 v4, vcc_lo, 0, v4, vcc_lo
	v_add_co_u32 v15, vcc_lo, v15, s70
	v_add_co_ci_u32_e32 v16, vcc_lo, s71, v16, vcc_lo
	v_add_co_u32 v13, vcc_lo, v13, s70
	v_add_co_u32 v19, s2, v19, s70
	v_add_co_ci_u32_e32 v14, vcc_lo, s71, v14, vcc_lo
	v_cmp_gt_i64_e32 vcc_lo, 0, v[3:4]
	v_add_co_ci_u32_e64 v20, s2, s71, v20, s2
	v_add_co_u32 v21, s2, v21, s70
	s_delay_alu instid0(VALU_DEP_1)
	v_add_co_ci_u32_e64 v22, s2, s71, v22, s2
	s_cbranch_vccnz .LBB8_43
.LBB8_18:                               ; =>This Loop Header: Depth=1
                                        ;     Child Loop BB8_29 Depth 2
	v_add_co_u32 v27, vcc_lo, v3, v0
	v_add_co_ci_u32_e32 v28, vcc_lo, 0, v4, vcc_lo
	v_dual_mov_b32 v30, s29 :: v_dual_mov_b32 v29, s28
	s_mov_b32 s77, 0
	s_delay_alu instid0(VALU_DEP_2) | instskip(NEXT) | instid1(VALU_DEP_1)
	v_cmp_le_i64_e64 s2, v[27:28], v[5:6]
	s_and_b32 s3, s0, s2
	s_delay_alu instid0(SALU_CYCLE_1)
	s_and_saveexec_b32 s4, s3
	s_cbranch_execz .LBB8_26
; %bb.19:                               ;   in Loop: Header=BB8_18 Depth=1
	v_and_b32_e32 v24, 1, v27
	v_dual_mov_b32 v30, s29 :: v_dual_mov_b32 v29, s28
	s_delay_alu instid0(VALU_DEP_2)
	v_cmp_eq_u32_e32 vcc_lo, 1, v24
	s_and_saveexec_b32 s5, vcc_lo
	s_cbranch_execz .LBB8_21
; %bb.20:                               ;   in Loop: Header=BB8_18 Depth=1
	v_alignbit_b32 v26, v28, v27, 1
	v_lshrrev_b32_e32 v29, 1, v28
	s_delay_alu instid0(VALU_DEP_2) | instskip(SKIP_1) | instid1(VALU_DEP_3)
	v_mul_lo_u32 v30, v26, s21
	v_mad_u64_u32 v[24:25], null, v26, s20, 0
	v_mul_lo_u32 v26, v29, s20
	s_delay_alu instid0(VALU_DEP_1) | instskip(NEXT) | instid1(VALU_DEP_1)
	v_add3_u32 v25, v25, v30, v26
	v_lshlrev_b64 v[24:25], 2, v[24:25]
	s_delay_alu instid0(VALU_DEP_1) | instskip(NEXT) | instid1(VALU_DEP_1)
	v_add_co_u32 v24, s3, v43, v24
	v_add_co_ci_u32_e64 v25, s3, v44, v25, s3
	global_load_b32 v29, v[24:25], off
	s_waitcnt vmcnt(0)
	v_ashrrev_i32_e32 v30, 31, v29
.LBB8_21:                               ;   in Loop: Header=BB8_18 Depth=1
	s_or_b32 exec_lo, exec_lo, s5
	s_mov_b32 s6, 0
	s_mov_b32 s5, exec_lo
	v_cmpx_lt_i64_e64 v[27:28], v[9:10]
	s_cbranch_execz .LBB8_25
; %bb.22:                               ;   in Loop: Header=BB8_18 Depth=1
	v_dual_mov_b32 v24, s28 :: v_dual_mov_b32 v25, s29
	s_and_saveexec_b32 s3, vcc_lo
	s_cbranch_execz .LBB8_24
; %bb.23:                               ;   in Loop: Header=BB8_18 Depth=1
	v_add_co_u32 v24, vcc_lo, v27, 2
	v_add_co_ci_u32_e32 v25, vcc_lo, 0, v28, vcc_lo
	s_delay_alu instid0(VALU_DEP_1) | instskip(SKIP_1) | instid1(VALU_DEP_2)
	v_alignbit_b32 v26, v25, v24, 1
	v_lshrrev_b32_e32 v31, 1, v25
	v_mul_lo_u32 v32, v26, s21
	v_mad_u64_u32 v[24:25], null, v26, s20, 0
	s_delay_alu instid0(VALU_DEP_3) | instskip(NEXT) | instid1(VALU_DEP_1)
	v_mul_lo_u32 v26, v31, s20
	v_add3_u32 v25, v25, v32, v26
	s_delay_alu instid0(VALU_DEP_1) | instskip(NEXT) | instid1(VALU_DEP_1)
	v_lshlrev_b64 v[24:25], 2, v[24:25]
	v_add_co_u32 v24, vcc_lo, v43, v24
	s_delay_alu instid0(VALU_DEP_2)
	v_add_co_ci_u32_e32 v25, vcc_lo, v44, v25, vcc_lo
	global_load_b32 v24, v[24:25], off
	s_waitcnt vmcnt(0)
	v_ashrrev_i32_e32 v25, 31, v24
.LBB8_24:                               ;   in Loop: Header=BB8_18 Depth=1
	s_or_b32 exec_lo, exec_lo, s3
	s_delay_alu instid0(VALU_DEP_1)
	v_cmp_ne_u64_e32 vcc_lo, v[24:25], v[29:30]
	s_and_b32 s6, vcc_lo, exec_lo
.LBB8_25:                               ;   in Loop: Header=BB8_18 Depth=1
	s_or_b32 exec_lo, exec_lo, s5
	s_delay_alu instid0(SALU_CYCLE_1)
	s_and_b32 s77, s6, exec_lo
.LBB8_26:                               ;   in Loop: Header=BB8_18 Depth=1
	s_or_b32 exec_lo, exec_lo, s4
	s_delay_alu instid0(SALU_CYCLE_1)
	s_and_not1_b32 vcc_lo, exec_lo, s76
	s_cbranch_vccnz .LBB8_17
; %bb.27:                               ;   in Loop: Header=BB8_18 Depth=1
	v_mad_u64_u32 v[25:26], null, s10, v29, v[17:18]
	v_mul_lo_u32 v24, s10, v30
	v_mul_lo_u32 v29, s11, v29
	v_cmp_gt_i64_e64 s4, 1, v[27:28]
	v_cmp_lt_i64_e32 vcc_lo, s[22:23], v[27:28]
	v_cmp_lt_i64_e64 s3, v[27:28], v[5:6]
	v_dual_mov_b32 v28, v22 :: v_dual_mov_b32 v27, v21
	v_dual_mov_b32 v32, v14 :: v_dual_mov_b32 v31, v13
	v_add3_u32 v26, v29, v26, v24
	v_dual_mov_b32 v30, v20 :: v_dual_mov_b32 v29, v19
	s_waitcnt vmcnt(0)
	v_dual_mov_b32 v34, v16 :: v_dual_mov_b32 v33, v15
	s_or_b32 s78, s1, s4
	s_xor_b32 s79, s2, -1
	s_mov_b64 s[68:69], s[12:13]
	s_branch .LBB8_29
.LBB8_28:                               ;   in Loop: Header=BB8_29 Depth=2
	s_or_b32 exec_lo, exec_lo, s5
	v_add_co_u32 v33, s4, v33, s72
	s_delay_alu instid0(VALU_DEP_1) | instskip(SKIP_1) | instid1(VALU_DEP_1)
	v_add_co_ci_u32_e64 v34, s4, s73, v34, s4
	v_add_co_u32 v25, s4, v25, s74
	v_add_co_ci_u32_e64 v26, s4, s75, v26, s4
	v_add_co_u32 v31, s4, v31, s72
	s_delay_alu instid0(VALU_DEP_1) | instskip(SKIP_1) | instid1(VALU_DEP_1)
	v_add_co_ci_u32_e64 v32, s4, s73, v32, s4
	v_add_co_u32 v29, s4, v29, s72
	v_add_co_ci_u32_e64 v30, s4, s73, v30, s4
	v_add_co_u32 v27, s4, v27, s72
	s_add_u32 s68, s68, -1
	v_add_co_ci_u32_e64 v28, s4, s73, v28, s4
	s_addc_u32 s69, s69, -1
	s_delay_alu instid0(SALU_CYCLE_1)
	s_cmp_eq_u64 s[68:69], -1
	s_cbranch_scc1 .LBB8_17
.LBB8_29:                               ;   Parent Loop BB8_18 Depth=1
                                        ; =>  This Inner Loop Header: Depth=2
	v_cmp_ge_i64_e64 s4, s[68:69], v[7:8]
	s_mov_b32 s80, 0
	s_waitcnt_vscnt null, 0x0
	s_barrier
	buffer_gl0_inv
	s_or_b32 s6, s79, s4
                                        ; implicit-def: $sgpr4_sgpr5
	s_delay_alu instid0(SALU_CYCLE_1) | instskip(NEXT) | instid1(SALU_CYCLE_1)
	s_and_saveexec_b32 s7, s6
	s_xor_b32 s6, exec_lo, s7
; %bb.30:                               ;   in Loop: Header=BB8_29 Depth=2
	v_cmp_lt_i64_e64 s4, s[68:69], v[1:2]
	s_delay_alu instid0(VALU_DEP_1) | instskip(NEXT) | instid1(SALU_CYCLE_1)
	s_and_b32 s4, s78, s4
	s_and_b32 s4, s4, s2
	s_delay_alu instid0(SALU_CYCLE_1)
	s_or_b32 s7, vcc_lo, s4
	s_mov_b32 s4, 0
	s_xor_b32 s7, s7, -1
	s_mov_b32 s5, 0xfff00000
	s_and_b32 s80, s7, exec_lo
; %bb.31:                               ;   in Loop: Header=BB8_29 Depth=2
	s_or_saveexec_b32 s81, s6
	v_dual_mov_b32 v36, s5 :: v_dual_mov_b32 v35, s4
	s_xor_b32 exec_lo, exec_lo, s81
	s_cbranch_execz .LBB8_41
; %bb.32:                               ;   in Loop: Header=BB8_29 Depth=2
	v_add_co_u32 v35, s4, v29, v11
	s_delay_alu instid0(VALU_DEP_1)
	v_add_co_ci_u32_e64 v36, s4, v30, v12, s4
	global_load_b64 v[39:40], v[35:36], off
	v_mov_b32_e32 v35, 0
	v_mov_b32_e32 v36, 0xfff00000
	s_waitcnt vmcnt(0)
	v_dual_mov_b32 v42, v40 :: v_dual_mov_b32 v41, v39
	s_delay_alu instid0(VALU_DEP_2)
	v_dual_mov_b32 v38, v36 :: v_dual_mov_b32 v37, v35
	s_and_saveexec_b32 s5, s3
	s_cbranch_execz .LBB8_36
; %bb.33:                               ;   in Loop: Header=BB8_29 Depth=2
	v_add_co_u32 v37, s4, v31, v11
	s_delay_alu instid0(VALU_DEP_1)
	v_add_co_ci_u32_e64 v38, s4, v32, v12, s4
	v_dual_mov_b32 v42, v40 :: v_dual_mov_b32 v41, v39
	s_mov_b32 s6, exec_lo
	global_load_b64 v[37:38], v[37:38], off
	s_waitcnt vmcnt(0)
	v_cmpx_gt_f64_e32 v[37:38], v[39:40]
; %bb.34:                               ;   in Loop: Header=BB8_29 Depth=2
	v_dual_mov_b32 v42, v38 :: v_dual_mov_b32 v41, v37
; %bb.35:                               ;   in Loop: Header=BB8_29 Depth=2
	s_or_b32 exec_lo, exec_lo, s6
.LBB8_36:                               ;   in Loop: Header=BB8_29 Depth=2
	s_delay_alu instid0(SALU_CYCLE_1)
	s_or_b32 exec_lo, exec_lo, s5
	s_and_saveexec_b32 s5, s77
	s_cbranch_execz .LBB8_40
; %bb.37:                               ;   in Loop: Header=BB8_29 Depth=2
	v_add_co_u32 v35, s4, v27, v11
	s_delay_alu instid0(VALU_DEP_1)
	v_add_co_ci_u32_e64 v36, s4, v28, v12, s4
	s_mov_b32 s6, exec_lo
	global_load_b64 v[35:36], v[35:36], off
	s_waitcnt vmcnt(0)
	v_cmpx_gt_f64_e32 v[35:36], v[41:42]
; %bb.38:                               ;   in Loop: Header=BB8_29 Depth=2
	v_dual_mov_b32 v42, v36 :: v_dual_mov_b32 v41, v35
; %bb.39:                               ;   in Loop: Header=BB8_29 Depth=2
	s_or_b32 exec_lo, exec_lo, s6
.LBB8_40:                               ;   in Loop: Header=BB8_29 Depth=2
	s_delay_alu instid0(SALU_CYCLE_1) | instskip(NEXT) | instid1(VALU_DEP_1)
	s_or_b32 exec_lo, exec_lo, s5
	v_cmp_neq_f64_e64 s4, 0xfff00000, v[41:42]
	s_mov_b32 s63, s49
	s_mov_b32 s64, s16
	;; [unrolled: 1-line block ×3, first 2 shown]
	s_or_b32 s80, s80, exec_lo
	s_delay_alu instid0(VALU_DEP_1) | instskip(SKIP_1) | instid1(VALU_DEP_1)
	v_cndmask_b32_e64 v42, 0, v42, s4
	v_cndmask_b32_e64 v41, 0, v41, s4
	v_add_f64 v[39:40], v[39:40], -v[41:42]
	v_add_f64 v[37:38], v[37:38], -v[41:42]
	v_add_f64 v[35:36], v[35:36], -v[41:42]
	s_delay_alu instid0(VALU_DEP_3) | instskip(NEXT) | instid1(VALU_DEP_3)
	v_mul_f64 v[45:46], v[39:40], s[14:15]
	v_mul_f64 v[47:48], v[37:38], s[14:15]
	s_delay_alu instid0(VALU_DEP_3)
	v_mul_f64 v[49:50], v[35:36], s[14:15]
	v_cmp_nlt_f64_e64 s4, 0x40900000, v[39:40]
	v_cmp_nlt_f64_e64 s6, 0x40900000, v[37:38]
	v_cmp_ngt_f64_e64 s5, 0xc090cc00, v[39:40]
	v_cmp_ngt_f64_e64 s7, 0xc090cc00, v[37:38]
	v_cmp_nlt_f64_e64 s8, 0x40900000, v[35:36]
	v_cmp_ngt_f64_e64 s9, 0xc090cc00, v[35:36]
	v_rndne_f64_e32 v[45:46], v[45:46]
	v_rndne_f64_e32 v[47:48], v[47:48]
	;; [unrolled: 1-line block ×3, first 2 shown]
	s_delay_alu instid0(VALU_DEP_3) | instskip(NEXT) | instid1(VALU_DEP_3)
	v_fma_f64 v[51:52], v[45:46], s[16:17], v[39:40]
	v_fma_f64 v[53:54], v[47:48], s[16:17], v[37:38]
	s_delay_alu instid0(VALU_DEP_3) | instskip(SKIP_1) | instid1(VALU_DEP_4)
	v_fma_f64 v[55:56], v[49:50], s[16:17], v[35:36]
	v_cvt_i32_f64_e32 v24, v[45:46]
	v_fma_f64 v[51:52], v[45:46], s[18:19], v[51:52]
	s_delay_alu instid0(VALU_DEP_4) | instskip(NEXT) | instid1(VALU_DEP_4)
	v_fma_f64 v[53:54], v[47:48], s[18:19], v[53:54]
	v_fma_f64 v[55:56], v[49:50], s[18:19], v[55:56]
	s_delay_alu instid0(VALU_DEP_3) | instskip(NEXT) | instid1(VALU_DEP_3)
	v_fma_f64 v[57:58], v[51:52], s[26:27], s[24:25]
	v_fma_f64 v[59:60], v[53:54], s[26:27], s[24:25]
	s_delay_alu instid0(VALU_DEP_3) | instskip(NEXT) | instid1(VALU_DEP_3)
	v_fma_f64 v[61:62], v[55:56], s[26:27], s[24:25]
	v_fma_f64 v[57:58], v[51:52], v[57:58], s[30:31]
	s_delay_alu instid0(VALU_DEP_3) | instskip(NEXT) | instid1(VALU_DEP_3)
	v_fma_f64 v[59:60], v[53:54], v[59:60], s[30:31]
	v_fma_f64 v[61:62], v[55:56], v[61:62], s[30:31]
	s_delay_alu instid0(VALU_DEP_3) | instskip(NEXT) | instid1(VALU_DEP_3)
	v_fma_f64 v[57:58], v[51:52], v[57:58], s[34:35]
	v_fma_f64 v[59:60], v[53:54], v[59:60], s[34:35]
	s_delay_alu instid0(VALU_DEP_3) | instskip(NEXT) | instid1(VALU_DEP_3)
	v_fma_f64 v[61:62], v[55:56], v[61:62], s[34:35]
	v_fma_f64 v[57:58], v[51:52], v[57:58], s[36:37]
	s_delay_alu instid0(VALU_DEP_3) | instskip(NEXT) | instid1(VALU_DEP_3)
	v_fma_f64 v[59:60], v[53:54], v[59:60], s[36:37]
	v_fma_f64 v[61:62], v[55:56], v[61:62], s[36:37]
	s_delay_alu instid0(VALU_DEP_3) | instskip(NEXT) | instid1(VALU_DEP_3)
	v_fma_f64 v[57:58], v[51:52], v[57:58], s[38:39]
	v_fma_f64 v[59:60], v[53:54], v[59:60], s[38:39]
	s_delay_alu instid0(VALU_DEP_3) | instskip(NEXT) | instid1(VALU_DEP_3)
	v_fma_f64 v[61:62], v[55:56], v[61:62], s[38:39]
	v_fma_f64 v[57:58], v[51:52], v[57:58], s[40:41]
	s_delay_alu instid0(VALU_DEP_3) | instskip(NEXT) | instid1(VALU_DEP_3)
	v_fma_f64 v[59:60], v[53:54], v[59:60], s[40:41]
	v_fma_f64 v[61:62], v[55:56], v[61:62], s[40:41]
	s_delay_alu instid0(VALU_DEP_3) | instskip(NEXT) | instid1(VALU_DEP_3)
	v_fma_f64 v[57:58], v[51:52], v[57:58], s[42:43]
	v_fma_f64 v[59:60], v[53:54], v[59:60], s[42:43]
	s_delay_alu instid0(VALU_DEP_3) | instskip(NEXT) | instid1(VALU_DEP_3)
	v_fma_f64 v[61:62], v[55:56], v[61:62], s[42:43]
	v_fma_f64 v[57:58], v[51:52], v[57:58], s[44:45]
	s_delay_alu instid0(VALU_DEP_3) | instskip(NEXT) | instid1(VALU_DEP_3)
	v_fma_f64 v[59:60], v[53:54], v[59:60], s[44:45]
	v_fma_f64 v[61:62], v[55:56], v[61:62], s[44:45]
	s_delay_alu instid0(VALU_DEP_3) | instskip(NEXT) | instid1(VALU_DEP_3)
	v_fma_f64 v[57:58], v[51:52], v[57:58], s[46:47]
	v_fma_f64 v[59:60], v[53:54], v[59:60], s[46:47]
	s_delay_alu instid0(VALU_DEP_3) | instskip(NEXT) | instid1(VALU_DEP_3)
	v_fma_f64 v[61:62], v[55:56], v[61:62], s[46:47]
	v_fma_f64 v[57:58], v[51:52], v[57:58], 1.0
	s_delay_alu instid0(VALU_DEP_3) | instskip(NEXT) | instid1(VALU_DEP_3)
	v_fma_f64 v[59:60], v[53:54], v[59:60], 1.0
	v_fma_f64 v[61:62], v[55:56], v[61:62], 1.0
	s_delay_alu instid0(VALU_DEP_3) | instskip(SKIP_1) | instid1(VALU_DEP_4)
	v_fma_f64 v[45:46], v[51:52], v[57:58], 1.0
	v_cvt_i32_f64_e32 v51, v[47:48]
	v_fma_f64 v[47:48], v[53:54], v[59:60], 1.0
	v_cvt_i32_f64_e32 v52, v[49:50]
	v_fma_f64 v[49:50], v[55:56], v[61:62], 1.0
	v_ldexp_f64 v[45:46], v[45:46], v24
	s_delay_alu instid0(VALU_DEP_4) | instskip(NEXT) | instid1(VALU_DEP_3)
	v_ldexp_f64 v[47:48], v[47:48], v51
	v_ldexp_f64 v[49:50], v[49:50], v52
	s_delay_alu instid0(VALU_DEP_3) | instskip(SKIP_1) | instid1(VALU_DEP_3)
	v_cndmask_b32_e64 v24, 0x7ff00000, v46, s4
	s_and_b32 s4, s5, s4
	v_cndmask_b32_e64 v39, 0x7ff00000, v48, s6
	v_cndmask_b32_e64 v35, 0, v45, s4
	s_and_b32 s4, s7, s6
	v_cndmask_b32_e64 v36, 0, v24, s5
	v_cndmask_b32_e64 v37, 0, v47, s4
	;; [unrolled: 1-line block ×4, first 2 shown]
	s_and_b32 s4, s9, s8
	s_delay_alu instid0(VALU_DEP_2) | instskip(NEXT) | instid1(VALU_DEP_2)
	v_add_f64 v[35:36], v[35:36], v[37:38]
	v_cndmask_b32_e64 v38, 0, v40, s9
	v_cndmask_b32_e64 v37, 0, v49, s4
	s_delay_alu instid0(VALU_DEP_1) | instskip(NEXT) | instid1(VALU_DEP_1)
	v_add_f64 v[35:36], v[37:38], v[35:36]
	v_frexp_mant_f64_e32 v[37:38], v[35:36]
	s_delay_alu instid0(VALU_DEP_1) | instskip(NEXT) | instid1(VALU_DEP_1)
	v_cmp_gt_f64_e64 s4, s[48:49], v[37:38]
	v_cndmask_b32_e64 v24, 0x3ff00000, 2.0, s4
	s_delay_alu instid0(VALU_DEP_1) | instskip(SKIP_1) | instid1(VALU_DEP_2)
	v_mul_f64 v[37:38], v[37:38], v[23:24]
	v_frexp_exp_i32_f64_e32 v24, v[35:36]
	v_add_f64 v[39:40], v[37:38], 1.0
	v_add_f64 v[49:50], v[37:38], -1.0
	s_delay_alu instid0(VALU_DEP_3) | instskip(SKIP_1) | instid1(VALU_DEP_4)
	v_subrev_co_ci_u32_e64 v24, s4, 0, v24, s4
	v_cmp_class_f64_e64 s4, v[35:36], 0x204
	v_rcp_f64_e32 v[45:46], v[39:40]
	v_add_f64 v[51:52], v[39:40], -1.0
	s_delay_alu instid0(VALU_DEP_1) | instskip(SKIP_2) | instid1(VALU_DEP_1)
	v_add_f64 v[37:38], v[37:38], -v[51:52]
	s_waitcnt_depctr 0xfff
	v_fma_f64 v[47:48], -v[39:40], v[45:46], 1.0
	v_fma_f64 v[45:46], v[47:48], v[45:46], v[45:46]
	s_delay_alu instid0(VALU_DEP_1) | instskip(NEXT) | instid1(VALU_DEP_1)
	v_fma_f64 v[47:48], -v[39:40], v[45:46], 1.0
	v_fma_f64 v[45:46], v[47:48], v[45:46], v[45:46]
	s_delay_alu instid0(VALU_DEP_1) | instskip(NEXT) | instid1(VALU_DEP_1)
	v_mul_f64 v[47:48], v[49:50], v[45:46]
	v_mul_f64 v[53:54], v[39:40], v[47:48]
	s_delay_alu instid0(VALU_DEP_1) | instskip(NEXT) | instid1(VALU_DEP_1)
	v_fma_f64 v[39:40], v[47:48], v[39:40], -v[53:54]
	v_fma_f64 v[37:38], v[47:48], v[37:38], v[39:40]
	s_delay_alu instid0(VALU_DEP_1) | instskip(NEXT) | instid1(VALU_DEP_1)
	v_add_f64 v[39:40], v[53:54], v[37:38]
	v_add_f64 v[51:52], v[49:50], -v[39:40]
	v_add_f64 v[53:54], v[39:40], -v[53:54]
	s_delay_alu instid0(VALU_DEP_2) | instskip(NEXT) | instid1(VALU_DEP_2)
	v_add_f64 v[49:50], v[49:50], -v[51:52]
	v_add_f64 v[37:38], v[53:54], -v[37:38]
	s_delay_alu instid0(VALU_DEP_2) | instskip(NEXT) | instid1(VALU_DEP_1)
	v_add_f64 v[39:40], v[49:50], -v[39:40]
	v_add_f64 v[37:38], v[37:38], v[39:40]
	s_delay_alu instid0(VALU_DEP_1) | instskip(NEXT) | instid1(VALU_DEP_1)
	v_add_f64 v[37:38], v[51:52], v[37:38]
	v_mul_f64 v[37:38], v[45:46], v[37:38]
	s_delay_alu instid0(VALU_DEP_1) | instskip(NEXT) | instid1(VALU_DEP_1)
	v_add_f64 v[39:40], v[47:48], v[37:38]
	v_mul_f64 v[45:46], v[39:40], v[39:40]
	s_delay_alu instid0(VALU_DEP_1) | instskip(SKIP_1) | instid1(VALU_DEP_2)
	v_fma_f64 v[49:50], v[45:46], s[52:53], s[50:51]
	v_mul_f64 v[51:52], v[39:40], v[45:46]
	v_fma_f64 v[49:50], v[45:46], v[49:50], s[54:55]
	s_delay_alu instid0(VALU_DEP_1) | instskip(NEXT) | instid1(VALU_DEP_1)
	v_fma_f64 v[49:50], v[45:46], v[49:50], s[56:57]
	v_fma_f64 v[49:50], v[45:46], v[49:50], s[58:59]
	s_delay_alu instid0(VALU_DEP_1) | instskip(NEXT) | instid1(VALU_DEP_1)
	v_fma_f64 v[49:50], v[45:46], v[49:50], s[60:61]
	v_fma_f64 v[45:46], v[45:46], v[49:50], s[62:63]
	v_ldexp_f64 v[49:50], v[39:40], 1
	v_add_f64 v[39:40], v[39:40], -v[47:48]
	s_delay_alu instid0(VALU_DEP_3) | instskip(SKIP_1) | instid1(VALU_DEP_3)
	v_mul_f64 v[45:46], v[51:52], v[45:46]
	v_cvt_f64_i32_e32 v[51:52], v24
	v_add_f64 v[37:38], v[37:38], -v[39:40]
	s_delay_alu instid0(VALU_DEP_3) | instskip(NEXT) | instid1(VALU_DEP_3)
	v_add_f64 v[47:48], v[49:50], v[45:46]
	v_mul_f64 v[53:54], v[51:52], s[64:65]
	s_delay_alu instid0(VALU_DEP_3) | instskip(NEXT) | instid1(VALU_DEP_3)
	v_ldexp_f64 v[37:38], v[37:38], 1
	v_add_f64 v[39:40], v[47:48], -v[49:50]
	s_delay_alu instid0(VALU_DEP_3) | instskip(NEXT) | instid1(VALU_DEP_2)
	v_fma_f64 v[49:50], v[51:52], s[64:65], -v[53:54]
	v_add_f64 v[39:40], v[45:46], -v[39:40]
	s_delay_alu instid0(VALU_DEP_2) | instskip(NEXT) | instid1(VALU_DEP_2)
	v_fma_f64 v[45:46], v[51:52], s[66:67], v[49:50]
	v_add_f64 v[37:38], v[37:38], v[39:40]
	s_delay_alu instid0(VALU_DEP_2) | instskip(NEXT) | instid1(VALU_DEP_2)
	v_add_f64 v[39:40], v[53:54], v[45:46]
	v_add_f64 v[49:50], v[47:48], v[37:38]
	s_delay_alu instid0(VALU_DEP_2) | instskip(NEXT) | instid1(VALU_DEP_2)
	v_add_f64 v[53:54], v[39:40], -v[53:54]
	v_add_f64 v[51:52], v[39:40], v[49:50]
	v_add_f64 v[47:48], v[49:50], -v[47:48]
	s_delay_alu instid0(VALU_DEP_3) | instskip(NEXT) | instid1(VALU_DEP_3)
	v_add_f64 v[45:46], v[45:46], -v[53:54]
	v_add_f64 v[55:56], v[51:52], -v[39:40]
	s_delay_alu instid0(VALU_DEP_3) | instskip(NEXT) | instid1(VALU_DEP_2)
	v_add_f64 v[37:38], v[37:38], -v[47:48]
	v_add_f64 v[57:58], v[51:52], -v[55:56]
	;; [unrolled: 1-line block ×3, first 2 shown]
	s_delay_alu instid0(VALU_DEP_3) | instskip(SKIP_2) | instid1(VALU_DEP_1)
	v_add_f64 v[53:54], v[45:46], v[37:38]
	global_load_b64 v[49:50], v[25:26], off
	v_add_f64 v[39:40], v[39:40], -v[57:58]
	v_add_f64 v[39:40], v[47:48], v[39:40]
	v_add_f64 v[47:48], v[53:54], -v[45:46]
	s_delay_alu instid0(VALU_DEP_2) | instskip(NEXT) | instid1(VALU_DEP_2)
	v_add_f64 v[39:40], v[53:54], v[39:40]
	v_add_f64 v[53:54], v[53:54], -v[47:48]
	v_add_f64 v[37:38], v[37:38], -v[47:48]
	s_delay_alu instid0(VALU_DEP_3) | instskip(NEXT) | instid1(VALU_DEP_3)
	v_add_f64 v[55:56], v[51:52], v[39:40]
	v_add_f64 v[45:46], v[45:46], -v[53:54]
	s_delay_alu instid0(VALU_DEP_2) | instskip(NEXT) | instid1(VALU_DEP_2)
	v_add_f64 v[47:48], v[55:56], -v[51:52]
	v_add_f64 v[37:38], v[37:38], v[45:46]
	s_delay_alu instid0(VALU_DEP_2) | instskip(NEXT) | instid1(VALU_DEP_1)
	v_add_f64 v[39:40], v[39:40], -v[47:48]
	v_add_f64 v[37:38], v[37:38], v[39:40]
	s_delay_alu instid0(VALU_DEP_1) | instskip(NEXT) | instid1(VALU_DEP_1)
	v_add_f64 v[37:38], v[55:56], v[37:38]
	v_cndmask_b32_e64 v24, v37, v35, s4
	s_delay_alu instid0(VALU_DEP_2) | instskip(SKIP_1) | instid1(VALU_DEP_1)
	v_cndmask_b32_e64 v37, v38, v36, s4
	v_cmp_ngt_f64_e64 s4, 0, v[35:36]
	v_cndmask_b32_e64 v38, 0x7ff80000, v37, s4
	v_cmp_nge_f64_e64 s4, 0, v[35:36]
	s_delay_alu instid0(VALU_DEP_1) | instskip(SKIP_1) | instid1(VALU_DEP_1)
	v_cndmask_b32_e64 v37, 0, v24, s4
	v_cmp_neq_f64_e64 s4, 0, v[35:36]
	v_cndmask_b32_e64 v38, 0xfff00000, v38, s4
	s_delay_alu instid0(VALU_DEP_1) | instskip(SKIP_1) | instid1(VALU_DEP_1)
	v_add_f64 v[35:36], v[41:42], v[37:38]
	s_waitcnt vmcnt(0)
	v_add_f64 v[35:36], v[49:50], v[35:36]
.LBB8_41:                               ;   in Loop: Header=BB8_29 Depth=2
	s_or_b32 exec_lo, exec_lo, s81
	s_and_saveexec_b32 s5, s80
	s_cbranch_execz .LBB8_28
; %bb.42:                               ;   in Loop: Header=BB8_29 Depth=2
	v_add_co_u32 v37, s4, v33, v11
	s_delay_alu instid0(VALU_DEP_1)
	v_add_co_ci_u32_e64 v38, s4, v34, v12, s4
	global_store_b64 v[37:38], v[35:36], off
	s_branch .LBB8_28
.LBB8_43:
	s_nop 0
	s_sendmsg sendmsg(MSG_DEALLOC_VGPRS)
	s_endpgm
.LBB8_44:
                                        ; implicit-def: $vgpr15_vgpr16
	s_branch .LBB8_4
	.section	.rodata,"a",@progbits
	.p2align	6, 0x0
	.amdhsa_kernel _ZN2at6native12_GLOBAL__N_137ctc_loss_backward_log_beta_gpu_kernelIdiEEvPT_PKS3_PKllPKT0_S8_lllllllS8_lll
		.amdhsa_group_segment_fixed_size 0
		.amdhsa_private_segment_fixed_size 0
		.amdhsa_kernarg_size 392
		.amdhsa_user_sgpr_count 14
		.amdhsa_user_sgpr_dispatch_ptr 0
		.amdhsa_user_sgpr_queue_ptr 0
		.amdhsa_user_sgpr_kernarg_segment_ptr 1
		.amdhsa_user_sgpr_dispatch_id 0
		.amdhsa_user_sgpr_private_segment_size 0
		.amdhsa_wavefront_size32 1
		.amdhsa_uses_dynamic_stack 0
		.amdhsa_enable_private_segment 0
		.amdhsa_system_sgpr_workgroup_id_x 1
		.amdhsa_system_sgpr_workgroup_id_y 1
		.amdhsa_system_sgpr_workgroup_id_z 0
		.amdhsa_system_sgpr_workgroup_info 0
		.amdhsa_system_vgpr_workitem_id 1
		.amdhsa_next_free_vgpr 63
		.amdhsa_next_free_sgpr 82
		.amdhsa_reserve_vcc 1
		.amdhsa_float_round_mode_32 0
		.amdhsa_float_round_mode_16_64 0
		.amdhsa_float_denorm_mode_32 3
		.amdhsa_float_denorm_mode_16_64 3
		.amdhsa_dx10_clamp 1
		.amdhsa_ieee_mode 1
		.amdhsa_fp16_overflow 0
		.amdhsa_workgroup_processor_mode 1
		.amdhsa_memory_ordered 1
		.amdhsa_forward_progress 0
		.amdhsa_shared_vgpr_count 0
		.amdhsa_exception_fp_ieee_invalid_op 0
		.amdhsa_exception_fp_denorm_src 0
		.amdhsa_exception_fp_ieee_div_zero 0
		.amdhsa_exception_fp_ieee_overflow 0
		.amdhsa_exception_fp_ieee_underflow 0
		.amdhsa_exception_fp_ieee_inexact 0
		.amdhsa_exception_int_div_zero 0
	.end_amdhsa_kernel
	.section	.text._ZN2at6native12_GLOBAL__N_137ctc_loss_backward_log_beta_gpu_kernelIdiEEvPT_PKS3_PKllPKT0_S8_lllllllS8_lll,"axG",@progbits,_ZN2at6native12_GLOBAL__N_137ctc_loss_backward_log_beta_gpu_kernelIdiEEvPT_PKS3_PKllPKT0_S8_lllllllS8_lll,comdat
.Lfunc_end8:
	.size	_ZN2at6native12_GLOBAL__N_137ctc_loss_backward_log_beta_gpu_kernelIdiEEvPT_PKS3_PKllPKT0_S8_lllllllS8_lll, .Lfunc_end8-_ZN2at6native12_GLOBAL__N_137ctc_loss_backward_log_beta_gpu_kernelIdiEEvPT_PKS3_PKllPKT0_S8_lllllllS8_lll
                                        ; -- End function
	.section	.AMDGPU.csdata,"",@progbits
; Kernel info:
; codeLenInByte = 5104
; NumSgprs: 84
; NumVgprs: 63
; ScratchSize: 0
; MemoryBound: 0
; FloatMode: 240
; IeeeMode: 1
; LDSByteSize: 0 bytes/workgroup (compile time only)
; SGPRBlocks: 10
; VGPRBlocks: 7
; NumSGPRsForWavesPerEU: 84
; NumVGPRsForWavesPerEU: 63
; Occupancy: 14
; WaveLimiterHint : 1
; COMPUTE_PGM_RSRC2:SCRATCH_EN: 0
; COMPUTE_PGM_RSRC2:USER_SGPR: 14
; COMPUTE_PGM_RSRC2:TRAP_HANDLER: 0
; COMPUTE_PGM_RSRC2:TGID_X_EN: 1
; COMPUTE_PGM_RSRC2:TGID_Y_EN: 1
; COMPUTE_PGM_RSRC2:TGID_Z_EN: 0
; COMPUTE_PGM_RSRC2:TIDIG_COMP_CNT: 1
	.section	.text._ZN2at6native12_GLOBAL__N_145ctc_loss_backward_collect_nonblank_gpu_kernelIdiEEvPT_PKS3_lS6_S6_S6_PKlPKT0_S8_S6_llllllllllllS8_llb,"axG",@progbits,_ZN2at6native12_GLOBAL__N_145ctc_loss_backward_collect_nonblank_gpu_kernelIdiEEvPT_PKS3_lS6_S6_S6_PKlPKT0_S8_S6_llllllllllllS8_llb,comdat
	.globl	_ZN2at6native12_GLOBAL__N_145ctc_loss_backward_collect_nonblank_gpu_kernelIdiEEvPT_PKS3_lS6_S6_S6_PKlPKT0_S8_S6_llllllllllllS8_llb ; -- Begin function _ZN2at6native12_GLOBAL__N_145ctc_loss_backward_collect_nonblank_gpu_kernelIdiEEvPT_PKS3_lS6_S6_S6_PKlPKT0_S8_S6_llllllllllllS8_llb
	.p2align	8
	.type	_ZN2at6native12_GLOBAL__N_145ctc_loss_backward_collect_nonblank_gpu_kernelIdiEEvPT_PKS3_lS6_S6_S6_PKlPKT0_S8_S6_llllllllllllS8_llb,@function
_ZN2at6native12_GLOBAL__N_145ctc_loss_backward_collect_nonblank_gpu_kernelIdiEEvPT_PKS3_lS6_S6_S6_PKlPKT0_S8_S6_llllllllllllS8_llb: ; @_ZN2at6native12_GLOBAL__N_145ctc_loss_backward_collect_nonblank_gpu_kernelIdiEEvPT_PKS3_lS6_S6_S6_PKlPKT0_S8_S6_llllllllllllS8_llb
; %bb.0:
	s_clause 0x1
	s_load_b32 s2, s[0:1], 0xdc
	s_load_b128 s[4:7], s[0:1], 0xb8
	v_bfe_u32 v3, v0, 10, 10
	s_waitcnt lgkmcnt(0)
	s_lshr_b32 s3, s2, 16
	s_delay_alu instid0(VALU_DEP_1) | instid1(SALU_CYCLE_1)
	v_mad_u64_u32 v[1:2], null, s15, s3, v[3:4]
	v_mov_b32_e32 v2, 0
	s_mov_b32 s3, exec_lo
	s_delay_alu instid0(VALU_DEP_1)
	v_cmpx_gt_i64_e64 s[6:7], v[1:2]
	s_cbranch_execz .LBB9_7
; %bb.1:
	s_load_b64 s[6:7], s[0:1], 0x40
	v_lshlrev_b64 v[8:9], 3, v[1:2]
	v_dual_mov_b32 v7, v2 :: v_dual_and_b32 v6, 0x3ff, v0
	s_and_b32 s2, s2, 0xffff
	s_waitcnt lgkmcnt(0)
	s_delay_alu instid0(VALU_DEP_2) | instskip(NEXT) | instid1(VALU_DEP_3)
	v_add_co_u32 v3, vcc_lo, s6, v8
	v_add_co_ci_u32_e32 v4, vcc_lo, s7, v9, vcc_lo
	global_load_b64 v[4:5], v[3:4], off
	v_mad_u64_u32 v[2:3], null, s2, s14, v[6:7]
	s_waitcnt vmcnt(0)
	s_delay_alu instid0(VALU_DEP_1)
	v_cmp_lt_i64_e32 vcc_lo, v[2:3], v[4:5]
	s_and_b32 exec_lo, exec_lo, vcc_lo
	s_cbranch_execz .LBB9_7
; %bb.2:
	s_clause 0x2
	s_load_b64 s[2:3], s[0:1], 0x48
	s_load_b32 s8, s[0:1], 0xc8
	s_load_b64 s[6:7], s[0:1], 0x30
	s_mov_b64 s[34:35], 0
	s_waitcnt lgkmcnt(0)
	v_add_co_u32 v4, vcc_lo, s2, v8
	v_add_co_ci_u32_e32 v5, vcc_lo, s3, v9, vcc_lo
	v_add_co_u32 v6, vcc_lo, s6, v8
	v_add_co_ci_u32_e32 v7, vcc_lo, s7, v9, vcc_lo
	global_load_b64 v[4:5], v[4:5], off
	s_bitcmp1_b32 s8, 0
	global_load_b64 v[6:7], v[6:7], off
	s_cselect_b32 s3, -1, 0
	s_delay_alu instid0(SALU_CYCLE_1)
	s_xor_b32 s3, s3, -1
	s_waitcnt vmcnt(1)
	v_cmp_neq_f64_e32 vcc_lo, 0x7ff00000, v[4:5]
	s_waitcnt vmcnt(0)
	v_cmp_lt_i64_e64 s2, 0, v[6:7]
	s_or_b32 s3, s3, vcc_lo
	s_delay_alu instid0(VALU_DEP_1) | instid1(SALU_CYCLE_1)
	s_and_b32 s2, s3, s2
	s_delay_alu instid0(SALU_CYCLE_1)
	s_and_b32 exec_lo, exec_lo, s2
	s_cbranch_execz .LBB9_7
; %bb.3:
	s_load_b64 s[2:3], s[0:1], 0xb0
	v_mul_lo_u32 v0, v3, s4
	v_mul_lo_u32 v12, v2, s5
	v_mad_u64_u32 v[10:11], null, v2, s4, 0
	s_load_b256 s[36:43], s[0:1], 0x0
	v_lshlrev_b64 v[2:3], 1, v[2:3]
	s_mov_b32 s44, 0xfca7ab0c
	s_mov_b32 s46, 0x6a5dcb37
	;; [unrolled: 1-line block ×4, first 2 shown]
	s_delay_alu instid0(VALU_DEP_2)
	v_add3_u32 v11, v11, v12, v0
	s_mov_b32 s52, 0x14761f6e
	s_mov_b32 s54, 0x1852b7b0
	;; [unrolled: 1-line block ×4, first 2 shown]
	v_lshlrev_b64 v[10:11], 2, v[10:11]
	s_mov_b32 s60, 0x55555511
	s_mov_b32 s45, 0x3e928af3
	;; [unrolled: 1-line block ×3, first 2 shown]
	s_waitcnt lgkmcnt(0)
	v_add_co_u32 v8, vcc_lo, s2, v8
	v_add_co_ci_u32_e32 v9, vcc_lo, s3, v9, vcc_lo
	s_load_b64 s[2:3], s[0:1], 0x38
	s_mov_b32 s49, 0x3ec71dee
	s_mov_b32 s51, 0x3efa0199
	global_load_b64 v[8:9], v[8:9], off
	s_mov_b32 s53, 0x3f2a01a0
	s_mov_b32 s55, 0x3f56c16c
	;; [unrolled: 1-line block ×5, first 2 shown]
	s_waitcnt vmcnt(0)
	v_lshlrev_b64 v[8:9], 2, v[8:9]
	s_waitcnt lgkmcnt(0)
	s_delay_alu instid0(VALU_DEP_1) | instskip(NEXT) | instid1(VALU_DEP_2)
	v_add_co_u32 v0, vcc_lo, s2, v8
	v_add_co_ci_u32_e32 v9, vcc_lo, s3, v9, vcc_lo
	s_mov_b32 s2, 0x652b82fe
	s_delay_alu instid0(VALU_DEP_2) | instskip(NEXT) | instid1(VALU_DEP_2)
	v_add_co_u32 v8, vcc_lo, v0, v10
	v_add_co_ci_u32_e32 v9, vcc_lo, v9, v11, vcc_lo
	s_mov_b32 s3, 0x3ff71547
	global_load_b32 v25, v[8:9], off
	v_mad_u64_u32 v[8:9], null, v1, s40, 0
	s_delay_alu instid0(VALU_DEP_1) | instskip(NEXT) | instid1(VALU_DEP_1)
	v_mov_b32_e32 v0, v9
	v_mad_u64_u32 v[9:10], null, v1, s41, v[0:1]
	v_or_b32_e32 v0, 1, v2
	s_mov_b32 s40, 0x3b39803f
	s_mov_b32 s41, 0xbc7abc9e
	s_delay_alu instid0(VALU_DEP_2) | instskip(NEXT) | instid1(VALU_DEP_1)
	v_lshlrev_b64 v[8:9], 3, v[8:9]
	v_add_co_u32 v8, vcc_lo, s38, v8
	s_delay_alu instid0(VALU_DEP_2)
	v_add_co_ci_u32_e32 v9, vcc_lo, s39, v9, vcc_lo
	s_mov_b32 s38, 0xfefa39ef
	s_mov_b32 s39, 0xbfe62e42
	global_load_b64 v[8:9], v[8:9], off
	s_clause 0x2
	s_load_b128 s[28:31], s[0:1], 0x20
	s_load_b512 s[4:19], s[0:1], 0x50
	s_load_b256 s[20:27], s[0:1], 0x90
	s_mov_b32 s1, 0
	s_waitcnt lgkmcnt(0)
	v_mad_u64_u32 v[10:11], null, v1, s6, 0
	v_mad_u64_u32 v[12:13], null, v1, s12, 0
	v_mul_lo_u32 v20, v3, s20
	v_mul_lo_u32 v21, v0, s21
	v_mad_u64_u32 v[18:19], null, v0, s20, 0
	v_mul_lo_u32 v26, v3, s26
	v_mul_lo_u32 v27, v0, s27
	v_mad_u64_u32 v[2:3], null, v0, s26, 0
	v_dual_mov_b32 v0, v11 :: v_dual_mov_b32 v11, v13
	v_mad_u64_u32 v[14:15], null, v1, s16, 0
	v_add3_u32 v19, v19, v21, v20
	s_delay_alu instid0(VALU_DEP_3) | instskip(NEXT) | instid1(VALU_DEP_4)
	v_mad_u64_u32 v[20:21], null, v1, s7, v[0:1]
	v_mad_u64_u32 v[21:22], null, v1, s13, v[11:12]
	;; [unrolled: 1-line block ×3, first 2 shown]
	v_mov_b32_e32 v13, v15
	v_add3_u32 v3, v3, v27, v26
	v_mov_b32_e32 v11, v20
	s_mov_b32 s6, 11
	s_mov_b32 s7, 0x3fe00000
	v_mad_u64_u32 v[22:23], null, v1, s17, v[13:14]
	v_mov_b32_e32 v13, v21
	v_mov_b32_e32 v15, v17
	v_lshlrev_b64 v[10:11], 3, v[10:11]
	v_lshlrev_b64 v[2:3], 3, v[2:3]
	s_delay_alu instid0(VALU_DEP_4) | instskip(NEXT) | instid1(VALU_DEP_4)
	v_lshlrev_b64 v[12:13], 3, v[12:13]
	v_mad_u64_u32 v[23:24], null, v1, s23, v[15:16]
	v_lshlrev_b64 v[0:1], 3, v[18:19]
	v_mov_b32_e32 v15, v22
	s_delay_alu instid0(VALU_DEP_4)
	v_add_co_u32 v18, vcc_lo, s30, v12
	v_add_co_ci_u32_e32 v19, vcc_lo, s31, v13, vcc_lo
	v_add_co_u32 v20, vcc_lo, s36, v10
	v_mov_b32_e32 v17, v23
	v_add_co_ci_u32_e32 v21, vcc_lo, s37, v11, vcc_lo
	v_lshlrev_b64 v[14:15], 3, v[14:15]
	s_delay_alu instid0(VALU_DEP_3) | instskip(NEXT) | instid1(VALU_DEP_2)
	v_lshlrev_b64 v[16:17], 3, v[16:17]
	v_add_co_u32 v14, vcc_lo, s42, v14
	s_delay_alu instid0(VALU_DEP_3)
	v_add_co_ci_u32_e32 v15, vcc_lo, s43, v15, vcc_lo
	s_waitcnt vmcnt(1)
	v_ashrrev_i32_e32 v22, 31, v25
	v_mul_lo_u32 v23, v25, s15
	v_mad_u64_u32 v[10:11], null, v25, s14, 0
	v_mul_lo_u32 v24, v25, s9
	s_delay_alu instid0(VALU_DEP_4) | instskip(SKIP_2) | instid1(VALU_DEP_3)
	v_mul_lo_u32 v26, v22, s14
	v_mad_u64_u32 v[12:13], null, v25, s8, 0
	v_mul_lo_u32 v22, v22, s8
	v_add3_u32 v11, v11, v23, v26
	v_add_co_u32 v23, vcc_lo, s28, v16
	s_delay_alu instid0(VALU_DEP_3) | instskip(SKIP_1) | instid1(VALU_DEP_4)
	v_add3_u32 v13, v13, v24, v22
	v_add_co_ci_u32_e32 v25, vcc_lo, s29, v17, vcc_lo
	v_lshlrev_b64 v[10:11], 3, v[10:11]
	v_add_co_u32 v14, vcc_lo, v14, v0
	v_add_co_ci_u32_e32 v15, vcc_lo, v15, v1, vcc_lo
	v_lshlrev_b64 v[0:1], 3, v[12:13]
	s_delay_alu instid0(VALU_DEP_4) | instskip(SKIP_1) | instid1(VALU_DEP_3)
	v_add_co_u32 v16, vcc_lo, v18, v10
	v_add_co_ci_u32_e32 v17, vcc_lo, v19, v11, vcc_lo
	v_add_co_u32 v18, vcc_lo, v20, v0
	s_delay_alu instid0(VALU_DEP_4)
	v_add_co_ci_u32_e32 v19, vcc_lo, v21, v1, vcc_lo
	v_add_co_u32 v20, vcc_lo, v23, v2
	v_add_co_ci_u32_e32 v21, vcc_lo, v25, v3, vcc_lo
.LBB9_4:                                ; =>This Loop Header: Depth=1
                                        ;     Child Loop BB9_5 Depth 2
	s_mul_i32 s0, s34, s19
	s_mul_hi_u32 s8, s34, s18
	s_mul_i32 s9, s35, s18
	s_add_i32 s0, s8, s0
	s_mul_hi_u32 s12, s34, s24
	s_add_i32 s9, s0, s9
	s_mul_i32 s0, s34, s25
	s_mul_i32 s8, s34, s18
	s_add_i32 s0, s12, s0
	s_mul_i32 s12, s35, s24
	s_lshl_b64 s[8:9], s[8:9], 3
	s_add_i32 s13, s0, s12
	s_mul_i32 s12, s34, s24
	v_add_co_u32 v0, vcc_lo, v14, s8
	v_add_co_ci_u32_e32 v1, vcc_lo, s9, v15, vcc_lo
	s_lshl_b64 s[8:9], s[12:13], 3
	s_mul_i32 s0, s34, s11
	v_add_co_u32 v2, vcc_lo, v20, s8
	v_add_co_ci_u32_e32 v3, vcc_lo, s9, v21, vcc_lo
	global_load_b64 v[0:1], v[0:1], off
	global_load_b64 v[2:3], v[2:3], off
	s_mul_hi_u32 s8, s34, s10
	s_mul_i32 s9, s35, s10
	s_add_i32 s0, s8, s0
	s_mul_i32 s8, s34, s10
	s_add_i32 s9, s0, s9
	s_mul_i32 s0, s34, s5
	s_lshl_b64 s[8:9], s[8:9], 3
	s_delay_alu instid0(SALU_CYCLE_1)
	v_add_co_u32 v10, vcc_lo, v16, s8
	v_add_co_ci_u32_e32 v11, vcc_lo, s9, v17, vcc_lo
	s_mul_hi_u32 s8, s34, s4
	s_mul_i32 s9, s35, s4
	s_add_i32 s0, s8, s0
	global_load_b64 v[10:11], v[10:11], off
	s_mul_i32 s8, s34, s4
	s_add_i32 s9, s0, s9
	s_delay_alu instid0(SALU_CYCLE_1) | instskip(SKIP_2) | instid1(VALU_DEP_1)
	s_lshl_b64 s[8:9], s[8:9], 3
	s_waitcnt vmcnt(1)
	v_add_f64 v[0:1], v[0:1], v[2:3]
	v_add_f64 v[0:1], v[4:5], v[0:1]
	s_waitcnt vmcnt(0)
	s_delay_alu instid0(VALU_DEP_1) | instskip(SKIP_2) | instid1(VALU_DEP_3)
	v_add_f64 v[0:1], v[0:1], -v[10:11]
	v_add_co_u32 v10, vcc_lo, v18, s8
	v_add_co_ci_u32_e32 v11, vcc_lo, s9, v19, vcc_lo
	v_mul_f64 v[2:3], v[0:1], s[2:3]
	v_cmp_nlt_f64_e32 vcc_lo, 0x40900000, v[0:1]
	v_cmp_ngt_f64_e64 s0, 0xc090cc00, v[0:1]
	s_delay_alu instid0(VALU_DEP_3) | instskip(NEXT) | instid1(VALU_DEP_1)
	v_rndne_f64_e32 v[12:13], v[2:3]
	v_fma_f64 v[2:3], v[12:13], s[38:39], v[0:1]
	v_cvt_i32_f64_e32 v26, v[12:13]
	s_delay_alu instid0(VALU_DEP_2) | instskip(NEXT) | instid1(VALU_DEP_1)
	v_fma_f64 v[22:23], v[12:13], s[40:41], v[2:3]
	v_fma_f64 v[2:3], v[22:23], s[46:47], s[44:45]
	s_delay_alu instid0(VALU_DEP_1) | instskip(NEXT) | instid1(VALU_DEP_1)
	v_fma_f64 v[2:3], v[22:23], v[2:3], s[48:49]
	v_fma_f64 v[2:3], v[22:23], v[2:3], s[50:51]
	s_delay_alu instid0(VALU_DEP_1) | instskip(NEXT) | instid1(VALU_DEP_1)
	v_fma_f64 v[2:3], v[22:23], v[2:3], s[52:53]
	v_fma_f64 v[2:3], v[22:23], v[2:3], s[54:55]
	s_delay_alu instid0(VALU_DEP_1) | instskip(SKIP_2) | instid1(VALU_DEP_1)
	v_fma_f64 v[24:25], v[22:23], v[2:3], s[56:57]
	global_load_b64 v[2:3], v[10:11], off
	v_fma_f64 v[24:25], v[22:23], v[24:25], s[58:59]
	v_fma_f64 v[24:25], v[22:23], v[24:25], s[60:61]
	s_delay_alu instid0(VALU_DEP_1) | instskip(NEXT) | instid1(VALU_DEP_1)
	v_fma_f64 v[24:25], v[22:23], v[24:25], s[6:7]
	v_fma_f64 v[24:25], v[22:23], v[24:25], 1.0
	s_delay_alu instid0(VALU_DEP_1) | instskip(NEXT) | instid1(VALU_DEP_1)
	v_fma_f64 v[12:13], v[22:23], v[24:25], 1.0
	v_ldexp_f64 v[12:13], -v[12:13], v26
	s_delay_alu instid0(VALU_DEP_1) | instskip(SKIP_1) | instid1(VALU_DEP_2)
	v_cndmask_b32_e32 v13, 0xfff00000, v13, vcc_lo
	s_and_b32 vcc_lo, s0, vcc_lo
	v_cndmask_b32_e32 v0, 0, v12, vcc_lo
	s_delay_alu instid0(VALU_DEP_2) | instskip(SKIP_1) | instid1(VALU_DEP_1)
	v_cndmask_b32_e64 v1, 0x80000000, v13, s0
	s_mov_b32 s0, 0
	v_mul_f64 v[12:13], v[8:9], v[0:1]
.LBB9_5:                                ;   Parent Loop BB9_4 Depth=1
                                        ; =>  This Inner Loop Header: Depth=2
	s_waitcnt vmcnt(0)
	s_delay_alu instid0(VALU_DEP_1)
	v_add_f64 v[0:1], v[2:3], v[12:13]
	global_atomic_cmpswap_b64 v[0:1], v[10:11], v[0:3], off glc
	s_waitcnt vmcnt(0)
	v_cmp_eq_u64_e32 vcc_lo, v[0:1], v[2:3]
	v_dual_mov_b32 v3, v1 :: v_dual_mov_b32 v2, v0
	s_or_b32 s0, vcc_lo, s0
	s_delay_alu instid0(SALU_CYCLE_1)
	s_and_not1_b32 exec_lo, exec_lo, s0
	s_cbranch_execnz .LBB9_5
; %bb.6:                                ;   in Loop: Header=BB9_4 Depth=1
	s_or_b32 exec_lo, exec_lo, s0
	s_add_u32 s34, s34, 1
	s_addc_u32 s35, s35, 0
	s_delay_alu instid0(SALU_CYCLE_1) | instskip(SKIP_1) | instid1(SALU_CYCLE_1)
	v_cmp_eq_u64_e32 vcc_lo, s[34:35], v[6:7]
	s_or_b32 s1, vcc_lo, s1
	s_and_not1_b32 exec_lo, exec_lo, s1
	s_cbranch_execnz .LBB9_4
.LBB9_7:
	s_endpgm
	.section	.rodata,"a",@progbits
	.p2align	6, 0x0
	.amdhsa_kernel _ZN2at6native12_GLOBAL__N_145ctc_loss_backward_collect_nonblank_gpu_kernelIdiEEvPT_PKS3_lS6_S6_S6_PKlPKT0_S8_S6_llllllllllllS8_llb
		.amdhsa_group_segment_fixed_size 0
		.amdhsa_private_segment_fixed_size 0
		.amdhsa_kernarg_size 464
		.amdhsa_user_sgpr_count 14
		.amdhsa_user_sgpr_dispatch_ptr 0
		.amdhsa_user_sgpr_queue_ptr 0
		.amdhsa_user_sgpr_kernarg_segment_ptr 1
		.amdhsa_user_sgpr_dispatch_id 0
		.amdhsa_user_sgpr_private_segment_size 0
		.amdhsa_wavefront_size32 1
		.amdhsa_uses_dynamic_stack 0
		.amdhsa_enable_private_segment 0
		.amdhsa_system_sgpr_workgroup_id_x 1
		.amdhsa_system_sgpr_workgroup_id_y 1
		.amdhsa_system_sgpr_workgroup_id_z 0
		.amdhsa_system_sgpr_workgroup_info 0
		.amdhsa_system_vgpr_workitem_id 1
		.amdhsa_next_free_vgpr 28
		.amdhsa_next_free_sgpr 62
		.amdhsa_reserve_vcc 1
		.amdhsa_float_round_mode_32 0
		.amdhsa_float_round_mode_16_64 0
		.amdhsa_float_denorm_mode_32 3
		.amdhsa_float_denorm_mode_16_64 3
		.amdhsa_dx10_clamp 1
		.amdhsa_ieee_mode 1
		.amdhsa_fp16_overflow 0
		.amdhsa_workgroup_processor_mode 1
		.amdhsa_memory_ordered 1
		.amdhsa_forward_progress 0
		.amdhsa_shared_vgpr_count 0
		.amdhsa_exception_fp_ieee_invalid_op 0
		.amdhsa_exception_fp_denorm_src 0
		.amdhsa_exception_fp_ieee_div_zero 0
		.amdhsa_exception_fp_ieee_overflow 0
		.amdhsa_exception_fp_ieee_underflow 0
		.amdhsa_exception_fp_ieee_inexact 0
		.amdhsa_exception_int_div_zero 0
	.end_amdhsa_kernel
	.section	.text._ZN2at6native12_GLOBAL__N_145ctc_loss_backward_collect_nonblank_gpu_kernelIdiEEvPT_PKS3_lS6_S6_S6_PKlPKT0_S8_S6_llllllllllllS8_llb,"axG",@progbits,_ZN2at6native12_GLOBAL__N_145ctc_loss_backward_collect_nonblank_gpu_kernelIdiEEvPT_PKS3_lS6_S6_S6_PKlPKT0_S8_S6_llllllllllllS8_llb,comdat
.Lfunc_end9:
	.size	_ZN2at6native12_GLOBAL__N_145ctc_loss_backward_collect_nonblank_gpu_kernelIdiEEvPT_PKS3_lS6_S6_S6_PKlPKT0_S8_S6_llllllllllllS8_llb, .Lfunc_end9-_ZN2at6native12_GLOBAL__N_145ctc_loss_backward_collect_nonblank_gpu_kernelIdiEEvPT_PKS3_lS6_S6_S6_PKlPKT0_S8_S6_llllllllllllS8_llb
                                        ; -- End function
	.section	.AMDGPU.csdata,"",@progbits
; Kernel info:
; codeLenInByte = 1744
; NumSgprs: 64
; NumVgprs: 28
; ScratchSize: 0
; MemoryBound: 0
; FloatMode: 240
; IeeeMode: 1
; LDSByteSize: 0 bytes/workgroup (compile time only)
; SGPRBlocks: 7
; VGPRBlocks: 3
; NumSGPRsForWavesPerEU: 64
; NumVGPRsForWavesPerEU: 28
; Occupancy: 14
; WaveLimiterHint : 1
; COMPUTE_PGM_RSRC2:SCRATCH_EN: 0
; COMPUTE_PGM_RSRC2:USER_SGPR: 14
; COMPUTE_PGM_RSRC2:TRAP_HANDLER: 0
; COMPUTE_PGM_RSRC2:TGID_X_EN: 1
; COMPUTE_PGM_RSRC2:TGID_Y_EN: 1
; COMPUTE_PGM_RSRC2:TGID_Z_EN: 0
; COMPUTE_PGM_RSRC2:TIDIG_COMP_CNT: 1
	.section	.text._ZN2at6native12_GLOBAL__N_136ctc_loss_backward_collect_gpu_kernelIdiEEvPT_PKS3_lS6_S6_S6_PKllPKT0_S8_lS6_llllllllllllS8_llllb,"axG",@progbits,_ZN2at6native12_GLOBAL__N_136ctc_loss_backward_collect_gpu_kernelIdiEEvPT_PKS3_lS6_S6_S6_PKllPKT0_S8_lS6_llllllllllllS8_llllb,comdat
	.globl	_ZN2at6native12_GLOBAL__N_136ctc_loss_backward_collect_gpu_kernelIdiEEvPT_PKS3_lS6_S6_S6_PKllPKT0_S8_lS6_llllllllllllS8_llllb ; -- Begin function _ZN2at6native12_GLOBAL__N_136ctc_loss_backward_collect_gpu_kernelIdiEEvPT_PKS3_lS6_S6_S6_PKllPKT0_S8_lS6_llllllllllllS8_llllb
	.p2align	8
	.type	_ZN2at6native12_GLOBAL__N_136ctc_loss_backward_collect_gpu_kernelIdiEEvPT_PKS3_lS6_S6_S6_PKllPKT0_S8_lS6_llllllllllllS8_llllb,@function
_ZN2at6native12_GLOBAL__N_136ctc_loss_backward_collect_gpu_kernelIdiEEvPT_PKS3_lS6_S6_S6_PKllPKT0_S8_lS6_llllllllllllS8_llllb: ; @_ZN2at6native12_GLOBAL__N_136ctc_loss_backward_collect_gpu_kernelIdiEEvPT_PKS3_lS6_S6_S6_PKllPKT0_S8_lS6_llllllllllllS8_llllb
; %bb.0:
	s_load_b32 s4, s[0:1], 0xfc
	v_bfe_u32 v3, v0, 10, 10
	s_clause 0x1
	s_load_b64 s[2:3], s[0:1], 0x38
	s_load_b256 s[24:31], s[0:1], 0xc8
	v_and_b32_e32 v5, 0x3ff, v0
	s_waitcnt lgkmcnt(0)
	s_lshr_b32 s5, s4, 16
	s_and_b32 s4, s4, 0xffff
	v_mad_u64_u32 v[1:2], null, s15, s5, v[3:4]
	v_mov_b32_e32 v2, 0
	s_delay_alu instid0(VALU_DEP_1) | instskip(NEXT) | instid1(VALU_DEP_1)
	v_mov_b32_e32 v6, v2
	v_mad_u64_u32 v[3:4], null, s4, s14, v[5:6]
	s_delay_alu instid0(VALU_DEP_1) | instskip(SKIP_1) | instid1(VALU_DEP_1)
	v_cmp_gt_i64_e32 vcc_lo, s[2:3], v[3:4]
	v_cmp_gt_i64_e64 s2, s[26:27], v[1:2]
	s_and_b32 s2, vcc_lo, s2
	s_delay_alu instid0(SALU_CYCLE_1)
	s_and_saveexec_b32 s3, s2
	s_cbranch_execz .LBB10_15
; %bb.1:
	s_clause 0x1
	s_load_b64 s[4:5], s[0:1], 0x30
	s_load_b64 s[2:3], s[0:1], 0x50
	v_lshlrev_b64 v[7:8], 3, v[1:2]
	s_clause 0x1
	s_load_b64 s[26:27], s[0:1], 0x0
	s_load_b512 s[8:23], s[0:1], 0x60
	s_waitcnt lgkmcnt(0)
	s_delay_alu instid0(VALU_DEP_1)
	v_add_co_u32 v5, vcc_lo, s4, v7
	v_add_co_ci_u32_e32 v6, vcc_lo, s5, v8, vcc_lo
	v_mad_u64_u32 v[9:10], null, v1, s10, 0
	v_cmp_lt_i64_e64 s4, s[2:3], 0
	global_load_b64 v[5:6], v[5:6], off
	v_mul_lo_u32 v2, v3, s9
	v_mov_b32_e32 v0, v10
	s_and_b32 vcc_lo, exec_lo, s4
	s_delay_alu instid0(VALU_DEP_1) | instskip(SKIP_2) | instid1(VALU_DEP_2)
	v_mad_u64_u32 v[10:11], null, v1, s11, v[0:1]
	v_mul_lo_u32 v0, v4, s8
	s_mov_b64 s[10:11], 0
	v_lshlrev_b64 v[9:10], 3, v[9:10]
	s_cbranch_vccnz .LBB10_10
; %bb.2:
	s_clause 0x3
	s_load_b64 s[34:35], s[0:1], 0xc0
	s_load_b128 s[4:7], s[0:1], 0x40
	s_load_b128 s[44:47], s[0:1], 0x18
	s_load_b256 s[36:43], s[0:1], 0xa0
	v_mul_lo_u32 v21, v4, s22
	v_mul_lo_u32 v22, v3, s23
	v_mad_u64_u32 v[19:20], null, v3, s8, 0
	s_mov_b32 s48, 0xfefa39ef
	s_mov_b32 s50, 0x3b39803f
	;; [unrolled: 1-line block ×6, first 2 shown]
	s_delay_alu instid0(VALU_DEP_1)
	v_add3_u32 v20, v20, v2, v0
	s_mov_b32 s60, 0x14761f6e
	s_mov_b32 s62, 0x1852b7b0
	;; [unrolled: 1-line block ×4, first 2 shown]
	v_lshlrev_b64 v[19:20], 3, v[19:20]
	s_waitcnt lgkmcnt(0)
	v_add_co_u32 v11, vcc_lo, s34, v7
	v_add_co_ci_u32_e32 v12, vcc_lo, s35, v8, vcc_lo
	v_add_co_u32 v13, vcc_lo, s6, v7
	v_add_co_ci_u32_e32 v14, vcc_lo, s7, v8, vcc_lo
	v_add_co_u32 v25, vcc_lo, s26, v9
	global_load_b64 v[15:16], v[11:12], off
	global_load_b64 v[17:18], v[13:14], off
	v_mad_u64_u32 v[11:12], null, v1, s20, 0
	v_mad_u64_u32 v[13:14], null, v3, s22, 0
	v_add_co_ci_u32_e32 v26, vcc_lo, s27, v10, vcc_lo
	v_mul_lo_u32 v29, v4, s40
	v_mul_lo_u32 v30, v3, s41
	v_mad_u64_u32 v[27:28], null, v3, s40, 0
	v_add3_u32 v14, v14, v22, v21
	v_mad_u64_u32 v[21:22], null, v1, s38, 0
	v_mad_u64_u32 v[23:24], null, v1, s21, v[12:13]
	v_add_co_u32 v25, vcc_lo, v25, v19
	s_delay_alu instid0(VALU_DEP_4)
	v_lshlrev_b64 v[13:14], 3, v[13:14]
	v_add_co_ci_u32_e32 v26, vcc_lo, v26, v20, vcc_lo
	v_add3_u32 v28, v28, v30, v29
	v_mov_b32_e32 v12, v23
	v_mad_u64_u32 v[23:24], null, v1, s39, v[22:23]
	s_mov_b32 s34, 0x652b82fe
	s_delay_alu instid0(VALU_DEP_3) | instskip(NEXT) | instid1(VALU_DEP_3)
	v_lshlrev_b64 v[19:20], 3, v[27:28]
	v_lshlrev_b64 v[11:12], 3, v[11:12]
	s_mov_b32 s68, 0x55555511
	s_mov_b32 s70, 11
	s_mov_b32 s72, 0x55555555
	s_delay_alu instid0(VALU_DEP_3) | instskip(SKIP_3) | instid1(VALU_DEP_3)
	v_mov_b32_e32 v22, v23
	s_mov_b32 s74, 0x6b47b09a
	v_add_co_u32 v11, vcc_lo, s44, v11
	v_add_co_ci_u32_e32 v12, vcc_lo, s45, v12, vcc_lo
	v_lshlrev_b64 v[21:22], 3, v[21:22]
	s_delay_alu instid0(VALU_DEP_3) | instskip(NEXT) | instid1(VALU_DEP_3)
	v_add_co_u32 v11, vcc_lo, v11, v13
	v_add_co_ci_u32_e32 v12, vcc_lo, v12, v14, vcc_lo
	s_mov_b32 s76, 0xbf559e2b
	s_delay_alu instid0(VALU_DEP_3) | instskip(NEXT) | instid1(VALU_DEP_4)
	v_add_co_u32 v13, vcc_lo, s46, v21
	v_add_co_ci_u32_e32 v14, vcc_lo, s47, v22, vcc_lo
	s_mov_b32 s78, 0xd7f4df2e
	s_delay_alu instid0(VALU_DEP_2) | instskip(NEXT) | instid1(VALU_DEP_2)
	v_add_co_u32 v13, vcc_lo, v13, v19
	v_add_co_ci_u32_e32 v14, vcc_lo, v14, v20, vcc_lo
	s_mov_b32 s80, 0x16291751
	s_mov_b32 s82, 0x9b27acf1
	;; [unrolled: 1-line block ×3, first 2 shown]
	s_lshl_b64 s[6:7], s[2:3], 1
	s_mov_b32 s23, 0
	s_mov_b32 s35, 0x3ff71547
	;; [unrolled: 1-line block ×21, first 2 shown]
	s_lshl_b64 s[20:21], s[36:37], 3
	s_lshl_b64 s[36:37], s[42:43], 3
	s_mov_b32 s38, 0x55555780
	s_mov_b32 s41, 0x3c7abc9e
	s_waitcnt vmcnt(1)
	v_lshlrev_b64 v[21:22], 2, v[15:16]
	s_waitcnt vmcnt(0)
	v_lshlrev_b64 v[15:16], 1, v[17:18]
	v_mov_b32_e32 v17, 0
	s_delay_alu instid0(VALU_DEP_3) | instskip(NEXT) | instid1(VALU_DEP_4)
	v_add_co_u32 v27, vcc_lo, s4, v21
	v_add_co_ci_u32_e32 v28, vcc_lo, s5, v22, vcc_lo
	s_mov_b32 s5, 0x3fe62e42
	s_branch .LBB10_5
.LBB10_3:                               ;   in Loop: Header=BB10_5 Depth=1
	s_or_b32 exec_lo, exec_lo, s22
	global_store_b64 v[19:20], v[21:22], off
.LBB10_4:                               ;   in Loop: Header=BB10_5 Depth=1
	s_or_b32 exec_lo, exec_lo, s9
	s_add_u32 s10, s10, 1
	s_addc_u32 s11, s11, 0
	v_add_co_u32 v11, vcc_lo, v11, s20
	v_cmp_lt_i64_e64 s2, s[6:7], s[10:11]
	v_add_co_ci_u32_e32 v12, vcc_lo, s21, v12, vcc_lo
	v_add_co_u32 v13, vcc_lo, v13, s36
	v_add_co_ci_u32_e32 v14, vcc_lo, s37, v14, vcc_lo
	s_delay_alu instid0(VALU_DEP_4)
	s_and_b32 vcc_lo, exec_lo, s2
	s_cbranch_vccnz .LBB10_10
.LBB10_5:                               ; =>This Inner Loop Header: Depth=1
	s_mov_b32 s9, exec_lo
	v_cmpx_le_i64_e64 s[10:11], v[15:16]
	s_cbranch_execz .LBB10_4
; %bb.6:                                ;   in Loop: Header=BB10_5 Depth=1
	v_dual_mov_b32 v18, s30 :: v_dual_mov_b32 v19, s31
	s_and_b32 s22, s10, 1
	s_delay_alu instid0(SALU_CYCLE_1)
	s_cmp_eq_u64 s[22:23], 0
	s_cbranch_scc1 .LBB10_8
; %bb.7:                                ;   in Loop: Header=BB10_5 Depth=1
	v_alignbit_b32 v18, s11, s10, 1
	s_lshr_b32 s2, s11, 1
	s_delay_alu instid0(SALU_CYCLE_1) | instskip(NEXT) | instid1(VALU_DEP_1)
	s_mul_i32 s2, s2, s24
	v_mul_lo_u32 v19, v18, s25
	v_mul_hi_u32 v20, v18, s24
	v_mul_lo_u32 v18, v18, s24
	s_delay_alu instid0(VALU_DEP_2) | instskip(NEXT) | instid1(VALU_DEP_1)
	v_add_nc_u32_e32 v19, v20, v19
	v_add_nc_u32_e32 v19, s2, v19
	s_delay_alu instid0(VALU_DEP_1) | instskip(NEXT) | instid1(VALU_DEP_1)
	v_lshlrev_b64 v[18:19], 2, v[18:19]
	v_add_co_u32 v18, vcc_lo, v27, v18
	s_delay_alu instid0(VALU_DEP_2)
	v_add_co_ci_u32_e32 v19, vcc_lo, v28, v19, vcc_lo
	global_load_b32 v18, v[18:19], off
	s_waitcnt vmcnt(0)
	v_ashrrev_i32_e32 v19, 31, v18
.LBB10_8:                               ;   in Loop: Header=BB10_5 Depth=1
	s_delay_alu instid0(VALU_DEP_1) | instskip(SKIP_3) | instid1(VALU_DEP_1)
	v_mul_lo_u32 v21, v19, s12
	v_mul_lo_u32 v22, v18, s13
	v_mad_u64_u32 v[19:20], null, v18, s12, 0
	s_mov_b32 s22, exec_lo
	v_add3_u32 v20, v20, v22, v21
	s_delay_alu instid0(VALU_DEP_1) | instskip(NEXT) | instid1(VALU_DEP_1)
	v_lshlrev_b64 v[19:20], 3, v[19:20]
	v_add_co_u32 v19, vcc_lo, v25, v19
	s_delay_alu instid0(VALU_DEP_2)
	v_add_co_ci_u32_e32 v20, vcc_lo, v26, v20, vcc_lo
	global_load_b64 v[21:22], v[11:12], off
	global_load_b64 v[29:30], v[13:14], off
	;; [unrolled: 1-line block ×3, first 2 shown]
	s_waitcnt vmcnt(1)
	v_add_f64 v[21:22], v[21:22], v[29:30]
	s_waitcnt vmcnt(0)
	v_cmpx_neq_f64_e32 0xfff00000, v[23:24]
	s_cbranch_execz .LBB10_3
; %bb.9:                                ;   in Loop: Header=BB10_5 Depth=1
	s_delay_alu instid0(VALU_DEP_2) | instskip(SKIP_3) | instid1(VALU_DEP_1)
	v_cmp_gt_f64_e32 vcc_lo, v[23:24], v[21:22]
	s_mov_b32 s39, s73
	s_mov_b32 s40, s50
	v_dual_cndmask_b32 v30, v22, v24 :: v_dual_cndmask_b32 v29, v21, v23
	v_add_f64 v[23:24], v[23:24], -v[29:30]
	v_add_f64 v[21:22], v[21:22], -v[29:30]
	s_delay_alu instid0(VALU_DEP_2) | instskip(NEXT) | instid1(VALU_DEP_2)
	v_mul_f64 v[31:32], v[23:24], s[34:35]
	v_mul_f64 v[33:34], v[21:22], s[34:35]
	v_cmp_nlt_f64_e32 vcc_lo, 0x40900000, v[23:24]
	v_cmp_nlt_f64_e64 s3, 0x40900000, v[21:22]
	v_cmp_ngt_f64_e64 s2, 0xc090cc00, v[23:24]
	v_cmp_ngt_f64_e64 s4, 0xc090cc00, v[21:22]
	v_rndne_f64_e32 v[31:32], v[31:32]
	v_rndne_f64_e32 v[33:34], v[33:34]
	s_delay_alu instid0(VALU_DEP_2) | instskip(NEXT) | instid1(VALU_DEP_2)
	v_fma_f64 v[35:36], v[31:32], s[48:49], v[23:24]
	v_fma_f64 v[37:38], v[33:34], s[48:49], v[21:22]
	v_cvt_i32_f64_e32 v18, v[31:32]
	s_delay_alu instid0(VALU_DEP_3) | instskip(NEXT) | instid1(VALU_DEP_3)
	v_fma_f64 v[35:36], v[31:32], s[50:51], v[35:36]
	v_fma_f64 v[37:38], v[33:34], s[50:51], v[37:38]
	s_delay_alu instid0(VALU_DEP_2) | instskip(NEXT) | instid1(VALU_DEP_2)
	v_fma_f64 v[39:40], v[35:36], s[54:55], s[52:53]
	v_fma_f64 v[41:42], v[37:38], s[54:55], s[52:53]
	s_delay_alu instid0(VALU_DEP_2) | instskip(NEXT) | instid1(VALU_DEP_2)
	v_fma_f64 v[39:40], v[35:36], v[39:40], s[56:57]
	v_fma_f64 v[41:42], v[37:38], v[41:42], s[56:57]
	s_delay_alu instid0(VALU_DEP_2) | instskip(NEXT) | instid1(VALU_DEP_2)
	v_fma_f64 v[39:40], v[35:36], v[39:40], s[58:59]
	v_fma_f64 v[41:42], v[37:38], v[41:42], s[58:59]
	s_delay_alu instid0(VALU_DEP_2) | instskip(NEXT) | instid1(VALU_DEP_2)
	v_fma_f64 v[39:40], v[35:36], v[39:40], s[60:61]
	v_fma_f64 v[41:42], v[37:38], v[41:42], s[60:61]
	s_delay_alu instid0(VALU_DEP_2) | instskip(NEXT) | instid1(VALU_DEP_2)
	v_fma_f64 v[39:40], v[35:36], v[39:40], s[62:63]
	v_fma_f64 v[41:42], v[37:38], v[41:42], s[62:63]
	s_delay_alu instid0(VALU_DEP_2) | instskip(NEXT) | instid1(VALU_DEP_2)
	v_fma_f64 v[39:40], v[35:36], v[39:40], s[64:65]
	v_fma_f64 v[41:42], v[37:38], v[41:42], s[64:65]
	s_delay_alu instid0(VALU_DEP_2) | instskip(NEXT) | instid1(VALU_DEP_2)
	v_fma_f64 v[39:40], v[35:36], v[39:40], s[66:67]
	v_fma_f64 v[41:42], v[37:38], v[41:42], s[66:67]
	s_delay_alu instid0(VALU_DEP_2) | instskip(NEXT) | instid1(VALU_DEP_2)
	v_fma_f64 v[39:40], v[35:36], v[39:40], s[68:69]
	v_fma_f64 v[41:42], v[37:38], v[41:42], s[68:69]
	s_delay_alu instid0(VALU_DEP_2) | instskip(NEXT) | instid1(VALU_DEP_2)
	v_fma_f64 v[39:40], v[35:36], v[39:40], s[70:71]
	v_fma_f64 v[41:42], v[37:38], v[41:42], s[70:71]
	s_delay_alu instid0(VALU_DEP_2) | instskip(NEXT) | instid1(VALU_DEP_2)
	v_fma_f64 v[39:40], v[35:36], v[39:40], 1.0
	v_fma_f64 v[41:42], v[37:38], v[41:42], 1.0
	s_delay_alu instid0(VALU_DEP_2) | instskip(SKIP_1) | instid1(VALU_DEP_3)
	v_fma_f64 v[31:32], v[35:36], v[39:40], 1.0
	v_cvt_i32_f64_e32 v35, v[33:34]
	v_fma_f64 v[33:34], v[37:38], v[41:42], 1.0
	s_delay_alu instid0(VALU_DEP_3) | instskip(NEXT) | instid1(VALU_DEP_2)
	v_ldexp_f64 v[31:32], v[31:32], v18
	v_ldexp_f64 v[33:34], v[33:34], v35
	s_delay_alu instid0(VALU_DEP_2) | instskip(SKIP_1) | instid1(VALU_DEP_2)
	v_cndmask_b32_e32 v18, 0x7ff00000, v32, vcc_lo
	s_and_b32 vcc_lo, s2, vcc_lo
	v_cndmask_b32_e64 v23, 0x7ff00000, v34, s3
	s_delay_alu instid0(VALU_DEP_4) | instskip(SKIP_2) | instid1(VALU_DEP_3)
	v_cndmask_b32_e32 v21, 0, v31, vcc_lo
	s_and_b32 vcc_lo, s4, s3
	v_cndmask_b32_e64 v22, 0, v18, s2
	v_cndmask_b32_e64 v24, 0, v23, s4
	v_cndmask_b32_e32 v23, 0, v33, vcc_lo
	s_mov_b32 s4, s48
	s_delay_alu instid0(VALU_DEP_1) | instskip(NEXT) | instid1(VALU_DEP_1)
	v_add_f64 v[21:22], v[21:22], v[23:24]
	v_frexp_mant_f64_e32 v[23:24], v[21:22]
	s_delay_alu instid0(VALU_DEP_1) | instskip(SKIP_1) | instid1(VALU_DEP_1)
	v_cmp_gt_f64_e32 vcc_lo, s[72:73], v[23:24]
	v_cndmask_b32_e64 v18, 0x3ff00000, 2.0, vcc_lo
	v_mul_f64 v[23:24], v[23:24], v[17:18]
	v_frexp_exp_i32_f64_e32 v18, v[21:22]
	s_delay_alu instid0(VALU_DEP_2) | instskip(SKIP_1) | instid1(VALU_DEP_3)
	v_add_f64 v[31:32], v[23:24], 1.0
	v_add_f64 v[37:38], v[23:24], -1.0
	v_subrev_co_ci_u32_e32 v18, vcc_lo, 0, v18, vcc_lo
	v_cmp_class_f64_e64 vcc_lo, v[21:22], 0x204
	s_delay_alu instid0(VALU_DEP_4) | instskip(SKIP_1) | instid1(VALU_DEP_1)
	v_rcp_f64_e32 v[33:34], v[31:32]
	v_add_f64 v[39:40], v[31:32], -1.0
	v_add_f64 v[23:24], v[23:24], -v[39:40]
	s_waitcnt_depctr 0xfff
	v_fma_f64 v[35:36], -v[31:32], v[33:34], 1.0
	s_delay_alu instid0(VALU_DEP_1) | instskip(NEXT) | instid1(VALU_DEP_1)
	v_fma_f64 v[33:34], v[35:36], v[33:34], v[33:34]
	v_fma_f64 v[35:36], -v[31:32], v[33:34], 1.0
	s_delay_alu instid0(VALU_DEP_1) | instskip(NEXT) | instid1(VALU_DEP_1)
	v_fma_f64 v[33:34], v[35:36], v[33:34], v[33:34]
	v_mul_f64 v[35:36], v[37:38], v[33:34]
	s_delay_alu instid0(VALU_DEP_1) | instskip(NEXT) | instid1(VALU_DEP_1)
	v_mul_f64 v[41:42], v[31:32], v[35:36]
	v_fma_f64 v[31:32], v[35:36], v[31:32], -v[41:42]
	s_delay_alu instid0(VALU_DEP_1) | instskip(NEXT) | instid1(VALU_DEP_1)
	v_fma_f64 v[23:24], v[35:36], v[23:24], v[31:32]
	v_add_f64 v[31:32], v[41:42], v[23:24]
	s_delay_alu instid0(VALU_DEP_1) | instskip(SKIP_1) | instid1(VALU_DEP_2)
	v_add_f64 v[39:40], v[37:38], -v[31:32]
	v_add_f64 v[41:42], v[31:32], -v[41:42]
	;; [unrolled: 1-line block ×3, first 2 shown]
	s_delay_alu instid0(VALU_DEP_2) | instskip(NEXT) | instid1(VALU_DEP_2)
	v_add_f64 v[23:24], v[41:42], -v[23:24]
	v_add_f64 v[31:32], v[37:38], -v[31:32]
	s_delay_alu instid0(VALU_DEP_1) | instskip(NEXT) | instid1(VALU_DEP_1)
	v_add_f64 v[23:24], v[23:24], v[31:32]
	v_add_f64 v[23:24], v[39:40], v[23:24]
	s_delay_alu instid0(VALU_DEP_1) | instskip(NEXT) | instid1(VALU_DEP_1)
	v_mul_f64 v[23:24], v[33:34], v[23:24]
	v_add_f64 v[31:32], v[35:36], v[23:24]
	s_delay_alu instid0(VALU_DEP_1) | instskip(NEXT) | instid1(VALU_DEP_1)
	v_mul_f64 v[33:34], v[31:32], v[31:32]
	v_fma_f64 v[37:38], v[33:34], s[76:77], s[74:75]
	v_mul_f64 v[39:40], v[31:32], v[33:34]
	s_delay_alu instid0(VALU_DEP_2) | instskip(NEXT) | instid1(VALU_DEP_1)
	v_fma_f64 v[37:38], v[33:34], v[37:38], s[78:79]
	v_fma_f64 v[37:38], v[33:34], v[37:38], s[80:81]
	s_delay_alu instid0(VALU_DEP_1) | instskip(NEXT) | instid1(VALU_DEP_1)
	v_fma_f64 v[37:38], v[33:34], v[37:38], s[82:83]
	v_fma_f64 v[37:38], v[33:34], v[37:38], s[84:85]
	s_delay_alu instid0(VALU_DEP_1) | instskip(SKIP_2) | instid1(VALU_DEP_3)
	v_fma_f64 v[33:34], v[33:34], v[37:38], s[38:39]
	v_ldexp_f64 v[37:38], v[31:32], 1
	v_add_f64 v[31:32], v[31:32], -v[35:36]
	v_mul_f64 v[33:34], v[39:40], v[33:34]
	v_cvt_f64_i32_e32 v[39:40], v18
	s_delay_alu instid0(VALU_DEP_3) | instskip(NEXT) | instid1(VALU_DEP_3)
	v_add_f64 v[23:24], v[23:24], -v[31:32]
	v_add_f64 v[35:36], v[37:38], v[33:34]
	s_delay_alu instid0(VALU_DEP_3) | instskip(NEXT) | instid1(VALU_DEP_3)
	v_mul_f64 v[41:42], v[39:40], s[4:5]
	v_ldexp_f64 v[23:24], v[23:24], 1
	s_delay_alu instid0(VALU_DEP_3) | instskip(NEXT) | instid1(VALU_DEP_3)
	v_add_f64 v[31:32], v[35:36], -v[37:38]
	v_fma_f64 v[37:38], v[39:40], s[4:5], -v[41:42]
	s_delay_alu instid0(VALU_DEP_2) | instskip(NEXT) | instid1(VALU_DEP_2)
	v_add_f64 v[31:32], v[33:34], -v[31:32]
	v_fma_f64 v[33:34], v[39:40], s[40:41], v[37:38]
	s_delay_alu instid0(VALU_DEP_2) | instskip(NEXT) | instid1(VALU_DEP_2)
	v_add_f64 v[23:24], v[23:24], v[31:32]
	v_add_f64 v[31:32], v[41:42], v[33:34]
	s_delay_alu instid0(VALU_DEP_2) | instskip(NEXT) | instid1(VALU_DEP_2)
	v_add_f64 v[37:38], v[35:36], v[23:24]
	v_add_f64 v[41:42], v[31:32], -v[41:42]
	s_delay_alu instid0(VALU_DEP_2) | instskip(SKIP_1) | instid1(VALU_DEP_3)
	v_add_f64 v[39:40], v[31:32], v[37:38]
	v_add_f64 v[35:36], v[37:38], -v[35:36]
	v_add_f64 v[33:34], v[33:34], -v[41:42]
	s_delay_alu instid0(VALU_DEP_3) | instskip(NEXT) | instid1(VALU_DEP_3)
	v_add_f64 v[43:44], v[39:40], -v[31:32]
	v_add_f64 v[23:24], v[23:24], -v[35:36]
	s_delay_alu instid0(VALU_DEP_2) | instskip(SKIP_1) | instid1(VALU_DEP_3)
	v_add_f64 v[45:46], v[39:40], -v[43:44]
	v_add_f64 v[35:36], v[37:38], -v[43:44]
	v_add_f64 v[37:38], v[33:34], v[23:24]
	s_delay_alu instid0(VALU_DEP_3) | instskip(NEXT) | instid1(VALU_DEP_1)
	v_add_f64 v[31:32], v[31:32], -v[45:46]
	v_add_f64 v[31:32], v[35:36], v[31:32]
	s_delay_alu instid0(VALU_DEP_3) | instskip(NEXT) | instid1(VALU_DEP_2)
	v_add_f64 v[35:36], v[37:38], -v[33:34]
	v_add_f64 v[31:32], v[37:38], v[31:32]
	s_delay_alu instid0(VALU_DEP_2) | instskip(SKIP_1) | instid1(VALU_DEP_3)
	v_add_f64 v[37:38], v[37:38], -v[35:36]
	v_add_f64 v[23:24], v[23:24], -v[35:36]
	v_add_f64 v[41:42], v[39:40], v[31:32]
	s_delay_alu instid0(VALU_DEP_3) | instskip(NEXT) | instid1(VALU_DEP_2)
	v_add_f64 v[33:34], v[33:34], -v[37:38]
	v_add_f64 v[35:36], v[41:42], -v[39:40]
	s_delay_alu instid0(VALU_DEP_2) | instskip(NEXT) | instid1(VALU_DEP_2)
	v_add_f64 v[23:24], v[23:24], v[33:34]
	v_add_f64 v[31:32], v[31:32], -v[35:36]
	s_delay_alu instid0(VALU_DEP_1) | instskip(NEXT) | instid1(VALU_DEP_1)
	v_add_f64 v[23:24], v[23:24], v[31:32]
	v_add_f64 v[23:24], v[41:42], v[23:24]
	s_delay_alu instid0(VALU_DEP_1) | instskip(SKIP_1) | instid1(VALU_DEP_2)
	v_dual_cndmask_b32 v18, v23, v21 :: v_dual_cndmask_b32 v23, v24, v22
	v_cmp_ngt_f64_e32 vcc_lo, 0, v[21:22]
	v_cndmask_b32_e32 v24, 0x7ff80000, v23, vcc_lo
	v_cmp_nge_f64_e32 vcc_lo, 0, v[21:22]
	s_delay_alu instid0(VALU_DEP_4) | instskip(SKIP_1) | instid1(VALU_DEP_4)
	v_cndmask_b32_e32 v23, 0, v18, vcc_lo
	v_cmp_neq_f64_e32 vcc_lo, 0, v[21:22]
	v_cndmask_b32_e32 v24, 0xfff00000, v24, vcc_lo
	s_delay_alu instid0(VALU_DEP_1)
	v_add_f64 v[21:22], v[29:30], v[23:24]
	s_branch .LBB10_3
.LBB10_10:
	v_cmp_lt_i64_e64 s2, s[28:29], 1
	s_delay_alu instid0(VALU_DEP_1)
	s_and_b32 vcc_lo, exec_lo, s2
	s_cbranch_vccnz .LBB10_15
; %bb.11:
	s_clause 0x2
	s_load_b64 s[2:3], s[0:1], 0x58
	s_load_b128 s[4:7], s[0:1], 0x8
	s_load_b32 s33, s[0:1], 0xe8
	v_mad_u64_u32 v[15:16], null, v3, s8, 0
	v_mul_lo_u32 v19, v3, s15
	s_mov_b32 s8, 0x3b39803f
	s_mov_b32 s10, 0xfca7ab0c
	s_mov_b32 s20, 0x623fde64
	s_mov_b32 s22, 0x7c89e6b0
	s_mov_b32 s24, 0x14761f6e
	s_delay_alu instid0(VALU_DEP_2)
	v_add3_u32 v16, v16, v2, v0
	s_mov_b32 s30, 0x11122322
	s_mov_b32 s34, 0x55555511
	;; [unrolled: 1-line block ×8, first 2 shown]
	s_waitcnt lgkmcnt(0)
	v_add_co_u32 v7, vcc_lo, s2, v7
	v_add_co_ci_u32_e32 v8, vcc_lo, s3, v8, vcc_lo
	v_mad_u64_u32 v[11:12], null, v1, s6, 0
	s_load_b64 s[2:3], s[0:1], 0x28
	global_load_b64 v[7:8], v[7:8], off
	s_bitcmp1_b32 s33, 0
	s_mov_b32 s31, 0x3f811111
	s_cselect_b32 s33, -1, 0
	s_mov_b32 s35, 0x3fc55555
	v_mad_u64_u32 v[13:14], null, v1, s7, v[12:13]
	s_mov_b32 s6, 0xfefa39ef
	s_mov_b32 s7, 0xbfe62e42
	;; [unrolled: 1-line block ×3, first 2 shown]
	s_lshl_b64 s[18:19], s[18:19], 3
	s_lshl_b64 s[12:13], s[12:13], 3
	s_delay_alu instid0(VALU_DEP_1) | instskip(SKIP_1) | instid1(VALU_DEP_2)
	v_mov_b32_e32 v12, v13
	v_mad_u64_u32 v[13:14], null, v1, s16, 0
	v_lshlrev_b64 v[11:12], 3, v[11:12]
	s_delay_alu instid0(VALU_DEP_1) | instskip(NEXT) | instid1(VALU_DEP_2)
	v_add_co_u32 v11, vcc_lo, s4, v11
	v_add_co_ci_u32_e32 v12, vcc_lo, s5, v12, vcc_lo
	v_add_co_u32 v17, vcc_lo, s26, v9
	v_add_co_ci_u32_e32 v18, vcc_lo, s27, v10, vcc_lo
	global_load_b64 v[11:12], v[11:12], off
	s_waitcnt vmcnt(2)
	v_cmp_lt_i64_e32 vcc_lo, v[3:4], v[5:6]
	v_mul_lo_u32 v6, v4, s14
	v_mad_u64_u32 v[4:5], null, v3, s14, 0
	v_mov_b32_e32 v3, v14
	s_mov_b32 s4, 0x652b82fe
	s_mov_b32 s14, 0x6a5dcb37
	;; [unrolled: 1-line block ×5, first 2 shown]
	s_delay_alu instid0(VALU_DEP_2)
	v_mad_u64_u32 v[9:10], null, v1, s17, v[3:4]
	v_add3_u32 v5, v5, v19, v6
	v_lshlrev_b64 v[0:1], 3, v[15:16]
	s_mov_b32 s16, 0x555502a1
	s_mov_b32 s27, 0x3f56c16c
	;; [unrolled: 1-line block ×3, first 2 shown]
	v_lshlrev_b64 v[2:3], 3, v[4:5]
	s_delay_alu instid0(VALU_DEP_4) | instskip(SKIP_1) | instid1(VALU_DEP_1)
	v_mov_b32_e32 v14, v9
	v_add_co_u32 v0, s1, v17, v0
	v_add_co_ci_u32_e64 v1, s1, v18, v1, s1
	s_delay_alu instid0(VALU_DEP_3) | instskip(SKIP_1) | instid1(VALU_DEP_1)
	v_lshlrev_b64 v[4:5], 3, v[13:14]
	s_waitcnt lgkmcnt(0)
	v_add_co_u32 v4, s1, s2, v4
	s_delay_alu instid0(VALU_DEP_1) | instskip(SKIP_1) | instid1(VALU_DEP_2)
	v_add_co_ci_u32_e64 v5, s1, s3, v5, s1
	s_xor_b32 s2, s33, -1
	v_add_co_u32 v2, s1, v4, v2
	s_delay_alu instid0(VALU_DEP_1) | instskip(SKIP_2) | instid1(VALU_DEP_1)
	v_add_co_ci_u32_e64 v3, s1, v5, v3, s1
	s_waitcnt vmcnt(1)
	v_cmp_neq_f64_e64 s0, 0x7ff00000, v[7:8]
	s_or_b32 s0, s2, s0
	s_delay_alu instid0(SALU_CYCLE_1)
	s_and_b32 s3, vcc_lo, s0
	s_branch .LBB10_13
.LBB10_12:                              ;   in Loop: Header=BB10_13 Depth=1
	s_or_b32 exec_lo, exec_lo, s33
	v_add_co_u32 v2, vcc_lo, v2, s18
	v_add_co_ci_u32_e32 v3, vcc_lo, s19, v3, vcc_lo
	global_store_b64 v[0:1], v[4:5], off
	v_add_co_u32 v0, vcc_lo, v0, s12
	s_add_u32 s28, s28, -1
	v_add_co_ci_u32_e32 v1, vcc_lo, s13, v1, vcc_lo
	s_addc_u32 s29, s29, -1
	s_delay_alu instid0(SALU_CYCLE_1)
	s_cmp_lg_u64 s[28:29], 0
	s_cbranch_scc0 .LBB10_15
.LBB10_13:                              ; =>This Inner Loop Header: Depth=1
	v_mov_b32_e32 v4, 0
	v_mov_b32_e32 v5, 0
	s_and_saveexec_b32 s33, s3
	s_cbranch_execz .LBB10_12
; %bb.14:                               ;   in Loop: Header=BB10_13 Depth=1
	global_load_b64 v[4:5], v[0:1], off
	global_load_b64 v[9:10], v[2:3], off
	s_waitcnt vmcnt(1)
	v_add_f64 v[4:5], v[7:8], v[4:5]
	s_waitcnt vmcnt(0)
	v_mul_f64 v[13:14], v[9:10], s[4:5]
	v_cmp_nlt_f64_e32 vcc_lo, 0x40900000, v[9:10]
	v_cmp_ngt_f64_e64 s0, 0xc090cc00, v[9:10]
	s_delay_alu instid0(VALU_DEP_4) | instskip(NEXT) | instid1(VALU_DEP_4)
	v_add_f64 v[4:5], v[4:5], -v[9:10]
	v_rndne_f64_e32 v[13:14], v[13:14]
	s_delay_alu instid0(VALU_DEP_2) | instskip(NEXT) | instid1(VALU_DEP_2)
	v_mul_f64 v[15:16], v[4:5], s[4:5]
	v_fma_f64 v[17:18], v[13:14], s[6:7], v[9:10]
	v_cvt_i32_f64_e32 v6, v[13:14]
	v_cmp_nlt_f64_e64 s1, 0x40900000, v[4:5]
	v_cmp_ngt_f64_e64 s2, 0xc090cc00, v[4:5]
	v_rndne_f64_e32 v[15:16], v[15:16]
	v_fma_f64 v[17:18], v[13:14], s[8:9], v[17:18]
	s_delay_alu instid0(VALU_DEP_2) | instskip(NEXT) | instid1(VALU_DEP_2)
	v_fma_f64 v[19:20], v[15:16], s[6:7], v[4:5]
	v_fma_f64 v[21:22], v[17:18], s[14:15], s[10:11]
	s_delay_alu instid0(VALU_DEP_2) | instskip(NEXT) | instid1(VALU_DEP_2)
	v_fma_f64 v[19:20], v[15:16], s[8:9], v[19:20]
	;; [unrolled: 3-line block ×10, first 2 shown]
	v_fma_f64 v[21:22], v[17:18], v[21:22], 1.0
	s_delay_alu instid0(VALU_DEP_2) | instskip(NEXT) | instid1(VALU_DEP_2)
	v_fma_f64 v[23:24], v[19:20], v[23:24], s[36:37]
	v_fma_f64 v[13:14], v[17:18], v[21:22], 1.0
	v_cvt_i32_f64_e32 v17, v[15:16]
	s_delay_alu instid0(VALU_DEP_3) | instskip(NEXT) | instid1(VALU_DEP_3)
	v_fma_f64 v[23:24], v[19:20], v[23:24], 1.0
	v_ldexp_f64 v[13:14], v[13:14], v6
	s_delay_alu instid0(VALU_DEP_2) | instskip(NEXT) | instid1(VALU_DEP_2)
	v_fma_f64 v[15:16], v[19:20], v[23:24], 1.0
	v_cndmask_b32_e32 v6, 0x7ff00000, v14, vcc_lo
	s_and_b32 vcc_lo, s0, vcc_lo
	s_delay_alu instid0(VALU_DEP_1) | instskip(NEXT) | instid1(VALU_DEP_3)
	v_cndmask_b32_e64 v5, 0, v6, s0
	v_ldexp_f64 v[15:16], v[15:16], v17
	v_cndmask_b32_e32 v4, 0, v13, vcc_lo
	s_and_b32 vcc_lo, s2, s1
	s_delay_alu instid0(VALU_DEP_2) | instskip(NEXT) | instid1(VALU_DEP_1)
	v_cndmask_b32_e64 v9, 0x7ff00000, v16, s1
	v_cndmask_b32_e64 v10, 0, v9, s2
	s_delay_alu instid0(VALU_DEP_4) | instskip(NEXT) | instid1(VALU_DEP_1)
	v_cndmask_b32_e32 v9, 0, v15, vcc_lo
	v_add_f64 v[4:5], v[4:5], -v[9:10]
	s_delay_alu instid0(VALU_DEP_1)
	v_mul_f64 v[4:5], v[11:12], v[4:5]
	s_branch .LBB10_12
.LBB10_15:
	s_nop 0
	s_sendmsg sendmsg(MSG_DEALLOC_VGPRS)
	s_endpgm
	.section	.rodata,"a",@progbits
	.p2align	6, 0x0
	.amdhsa_kernel _ZN2at6native12_GLOBAL__N_136ctc_loss_backward_collect_gpu_kernelIdiEEvPT_PKS3_lS6_S6_S6_PKllPKT0_S8_lS6_llllllllllllS8_llllb
		.amdhsa_group_segment_fixed_size 0
		.amdhsa_private_segment_fixed_size 0
		.amdhsa_kernarg_size 496
		.amdhsa_user_sgpr_count 14
		.amdhsa_user_sgpr_dispatch_ptr 0
		.amdhsa_user_sgpr_queue_ptr 0
		.amdhsa_user_sgpr_kernarg_segment_ptr 1
		.amdhsa_user_sgpr_dispatch_id 0
		.amdhsa_user_sgpr_private_segment_size 0
		.amdhsa_wavefront_size32 1
		.amdhsa_uses_dynamic_stack 0
		.amdhsa_enable_private_segment 0
		.amdhsa_system_sgpr_workgroup_id_x 1
		.amdhsa_system_sgpr_workgroup_id_y 1
		.amdhsa_system_sgpr_workgroup_id_z 0
		.amdhsa_system_sgpr_workgroup_info 0
		.amdhsa_system_vgpr_workitem_id 1
		.amdhsa_next_free_vgpr 47
		.amdhsa_next_free_sgpr 86
		.amdhsa_reserve_vcc 1
		.amdhsa_float_round_mode_32 0
		.amdhsa_float_round_mode_16_64 0
		.amdhsa_float_denorm_mode_32 3
		.amdhsa_float_denorm_mode_16_64 3
		.amdhsa_dx10_clamp 1
		.amdhsa_ieee_mode 1
		.amdhsa_fp16_overflow 0
		.amdhsa_workgroup_processor_mode 1
		.amdhsa_memory_ordered 1
		.amdhsa_forward_progress 0
		.amdhsa_shared_vgpr_count 0
		.amdhsa_exception_fp_ieee_invalid_op 0
		.amdhsa_exception_fp_denorm_src 0
		.amdhsa_exception_fp_ieee_div_zero 0
		.amdhsa_exception_fp_ieee_overflow 0
		.amdhsa_exception_fp_ieee_underflow 0
		.amdhsa_exception_fp_ieee_inexact 0
		.amdhsa_exception_int_div_zero 0
	.end_amdhsa_kernel
	.section	.text._ZN2at6native12_GLOBAL__N_136ctc_loss_backward_collect_gpu_kernelIdiEEvPT_PKS3_lS6_S6_S6_PKllPKT0_S8_lS6_llllllllllllS8_llllb,"axG",@progbits,_ZN2at6native12_GLOBAL__N_136ctc_loss_backward_collect_gpu_kernelIdiEEvPT_PKS3_lS6_S6_S6_PKllPKT0_S8_lS6_llllllllllllS8_llllb,comdat
.Lfunc_end10:
	.size	_ZN2at6native12_GLOBAL__N_136ctc_loss_backward_collect_gpu_kernelIdiEEvPT_PKS3_lS6_S6_S6_PKllPKT0_S8_lS6_llllllllllllS8_llllb, .Lfunc_end10-_ZN2at6native12_GLOBAL__N_136ctc_loss_backward_collect_gpu_kernelIdiEEvPT_PKS3_lS6_S6_S6_PKllPKT0_S8_lS6_llllllllllllS8_llllb
                                        ; -- End function
	.section	.AMDGPU.csdata,"",@progbits
; Kernel info:
; codeLenInByte = 3740
; NumSgprs: 88
; NumVgprs: 47
; ScratchSize: 0
; MemoryBound: 0
; FloatMode: 240
; IeeeMode: 1
; LDSByteSize: 0 bytes/workgroup (compile time only)
; SGPRBlocks: 10
; VGPRBlocks: 5
; NumSGPRsForWavesPerEU: 88
; NumVGPRsForWavesPerEU: 47
; Occupancy: 14
; WaveLimiterHint : 1
; COMPUTE_PGM_RSRC2:SCRATCH_EN: 0
; COMPUTE_PGM_RSRC2:USER_SGPR: 14
; COMPUTE_PGM_RSRC2:TRAP_HANDLER: 0
; COMPUTE_PGM_RSRC2:TGID_X_EN: 1
; COMPUTE_PGM_RSRC2:TGID_Y_EN: 1
; COMPUTE_PGM_RSRC2:TGID_Z_EN: 0
; COMPUTE_PGM_RSRC2:TIDIG_COMP_CNT: 1
	.section	.text._ZN2at6native12_GLOBAL__N_137ctc_loss_backward_log_beta_gpu_kernelIflEEvPT_PKS3_PKllPKT0_S8_lllllllS8_lll,"axG",@progbits,_ZN2at6native12_GLOBAL__N_137ctc_loss_backward_log_beta_gpu_kernelIflEEvPT_PKS3_PKllPKT0_S8_lllllllS8_lll,comdat
	.globl	_ZN2at6native12_GLOBAL__N_137ctc_loss_backward_log_beta_gpu_kernelIflEEvPT_PKS3_PKllPKT0_S8_lllllllS8_lll ; -- Begin function _ZN2at6native12_GLOBAL__N_137ctc_loss_backward_log_beta_gpu_kernelIflEEvPT_PKS3_PKllPKT0_S8_lllllllS8_lll
	.p2align	8
	.type	_ZN2at6native12_GLOBAL__N_137ctc_loss_backward_log_beta_gpu_kernelIflEEvPT_PKS3_PKllPKT0_S8_lllllllS8_lll,@function
_ZN2at6native12_GLOBAL__N_137ctc_loss_backward_log_beta_gpu_kernelIflEEvPT_PKS3_PKllPKT0_S8_lllllllS8_lll: ; @_ZN2at6native12_GLOBAL__N_137ctc_loss_backward_log_beta_gpu_kernelIflEEvPT_PKS3_PKllPKT0_S8_lllllllS8_lll
; %bb.0:
	s_clause 0x1
	s_load_b32 s4, s[0:1], 0x94
	s_load_b128 s[20:23], s[0:1], 0x70
	v_bfe_u32 v1, v0, 10, 10
	s_add_u32 s2, s0, 0x88
	s_addc_u32 s3, s1, 0
	s_waitcnt lgkmcnt(0)
	s_lshr_b32 s4, s4, 16
	s_delay_alu instid0(SALU_CYCLE_1) | instskip(SKIP_2) | instid1(VALU_DEP_1)
	v_mad_u64_u32 v[11:12], null, s15, s4, v[1:2]
	v_mov_b32_e32 v12, 0
	s_mov_b32 s4, exec_lo
	v_cmpx_gt_i64_e64 s[22:23], v[11:12]
	s_cbranch_execz .LBB11_43
; %bb.1:
	s_load_b64 s[4:5], s[0:1], 0x10
	v_lshlrev_b64 v[3:4], 3, v[11:12]
	s_waitcnt lgkmcnt(0)
	s_delay_alu instid0(VALU_DEP_1) | instskip(NEXT) | instid1(VALU_DEP_2)
	v_add_co_u32 v1, vcc_lo, s4, v3
	v_add_co_ci_u32_e32 v2, vcc_lo, s5, v4, vcc_lo
	global_load_b64 v[1:2], v[1:2], off
	s_waitcnt vmcnt(0)
	v_cmp_ne_u64_e32 vcc_lo, 0, v[1:2]
	s_and_b32 exec_lo, exec_lo, vcc_lo
	s_cbranch_execz .LBB11_43
; %bb.2:
	s_clause 0x1
	s_load_b64 s[4:5], s[0:1], 0x28
	s_load_b64 s[6:7], s[0:1], 0x68
	s_waitcnt lgkmcnt(0)
	v_add_co_u32 v5, vcc_lo, s4, v3
	v_add_co_ci_u32_e32 v6, vcc_lo, s5, v4, vcc_lo
	v_add_co_u32 v3, vcc_lo, s6, v3
	v_add_co_ci_u32_e32 v4, vcc_lo, s7, v4, vcc_lo
	global_load_b64 v[13:14], v[5:6], off
	global_load_b64 v[5:6], v[3:4], off
	s_load_b256 s[4:11], s[0:1], 0x30
	s_load_b32 s2, s[2:3], 0xc
	s_waitcnt lgkmcnt(0)
	s_lshl_b64 s[22:23], s[4:5], 1
	s_mov_b32 s4, 0
	s_mov_b32 s5, s23
	s_and_b32 s30, s2, 0xffff
	s_cmp_lg_u64 s[4:5], 0
	s_cbranch_scc0 .LBB11_44
; %bb.3:
	v_cvt_f32_ubyte0_e32 v3, 0
	v_cvt_f32_u32_e32 v4, s30
	s_sub_u32 s5, 0, s30
	s_subb_u32 s12, 0, 0
	s_delay_alu instid0(VALU_DEP_1) | instskip(NEXT) | instid1(VALU_DEP_1)
	v_fmamk_f32 v3, v3, 0x4f800000, v4
	v_rcp_f32_e32 v3, v3
	s_waitcnt_depctr 0xfff
	v_mul_f32_e32 v3, 0x5f7ffffc, v3
	s_delay_alu instid0(VALU_DEP_1) | instskip(NEXT) | instid1(VALU_DEP_1)
	v_mul_f32_e32 v4, 0x2f800000, v3
	v_trunc_f32_e32 v4, v4
	s_delay_alu instid0(VALU_DEP_1) | instskip(SKIP_1) | instid1(VALU_DEP_2)
	v_fmamk_f32 v3, v4, 0xcf800000, v3
	v_cvt_u32_f32_e32 v4, v4
	v_cvt_u32_f32_e32 v3, v3
	s_delay_alu instid0(VALU_DEP_2) | instskip(NEXT) | instid1(VALU_DEP_2)
	v_readfirstlane_b32 s2, v4
	v_readfirstlane_b32 s3, v3
	s_delay_alu instid0(VALU_DEP_2) | instskip(NEXT) | instid1(VALU_DEP_1)
	s_mul_i32 s13, s5, s2
	s_mul_hi_u32 s15, s5, s3
	s_mul_i32 s14, s12, s3
	s_add_i32 s13, s15, s13
	s_mul_i32 s16, s5, s3
	s_add_i32 s13, s13, s14
	s_mul_hi_u32 s15, s3, s16
	s_mul_hi_u32 s17, s2, s16
	s_mul_i32 s14, s2, s16
	s_mul_hi_u32 s16, s3, s13
	s_mul_i32 s3, s3, s13
	s_mul_hi_u32 s18, s2, s13
	s_add_u32 s3, s15, s3
	s_addc_u32 s15, 0, s16
	s_add_u32 s3, s3, s14
	s_mul_i32 s13, s2, s13
	s_addc_u32 s3, s15, s17
	s_addc_u32 s14, s18, 0
	s_add_u32 s3, s3, s13
	s_addc_u32 s13, 0, s14
	v_add_co_u32 v3, s3, v3, s3
	s_delay_alu instid0(VALU_DEP_1) | instskip(SKIP_1) | instid1(VALU_DEP_1)
	s_cmp_lg_u32 s3, 0
	s_addc_u32 s2, s2, s13
	v_readfirstlane_b32 s3, v3
	s_mul_i32 s13, s5, s2
	s_delay_alu instid0(VALU_DEP_1)
	s_mul_hi_u32 s14, s5, s3
	s_mul_i32 s12, s12, s3
	s_add_i32 s13, s14, s13
	s_mul_i32 s5, s5, s3
	s_add_i32 s13, s13, s12
	s_mul_hi_u32 s14, s2, s5
	s_mul_i32 s15, s2, s5
	s_mul_hi_u32 s5, s3, s5
	s_mul_hi_u32 s16, s3, s13
	s_mul_i32 s3, s3, s13
	s_mul_hi_u32 s12, s2, s13
	s_add_u32 s3, s5, s3
	s_addc_u32 s5, 0, s16
	s_add_u32 s3, s3, s15
	s_mul_i32 s13, s2, s13
	s_addc_u32 s3, s5, s14
	s_addc_u32 s5, s12, 0
	s_add_u32 s3, s3, s13
	s_addc_u32 s5, 0, s5
	v_add_co_u32 v3, s3, v3, s3
	s_delay_alu instid0(VALU_DEP_1) | instskip(SKIP_2) | instid1(VALU_DEP_1)
	s_cmp_lg_u32 s3, 0
	s_addc_u32 s5, s2, s5
	s_ashr_i32 s12, s23, 31
	v_readfirstlane_b32 s14, v3
	s_add_u32 s2, s22, s12
	s_mov_b32 s13, s12
	s_addc_u32 s3, s23, s12
	s_delay_alu instid0(SALU_CYCLE_1) | instskip(NEXT) | instid1(SALU_CYCLE_1)
	s_xor_b64 s[2:3], s[2:3], s[12:13]
	s_mul_i32 s15, s2, s5
	s_mul_hi_u32 s16, s2, s14
	s_mul_hi_u32 s13, s2, s5
	;; [unrolled: 1-line block ×3, first 2 shown]
	s_mul_i32 s14, s3, s14
	s_add_u32 s15, s16, s15
	s_addc_u32 s13, 0, s13
	s_mul_hi_u32 s17, s3, s5
	s_add_u32 s14, s15, s14
	s_mul_i32 s5, s3, s5
	s_addc_u32 s13, s13, s18
	s_addc_u32 s14, s17, 0
	s_add_u32 s5, s13, s5
	s_addc_u32 s13, 0, s14
	s_mul_hi_u32 s14, s30, s5
	s_mul_i32 s5, s30, s5
	s_mul_i32 s13, s30, s13
	v_sub_co_u32 v3, s2, s2, s5
	s_add_i32 s14, s14, s13
	s_cmp_lg_u32 s2, 0
	s_delay_alu instid0(VALU_DEP_1) | instskip(SKIP_2) | instid1(VALU_DEP_1)
	v_sub_co_u32 v4, s2, v3, s30
	s_subb_u32 s3, s3, s14
	s_cmp_lg_u32 s2, 0
	v_cmp_le_u32_e32 vcc_lo, s30, v4
	v_sub_co_u32 v7, s2, v4, s30
	s_subb_u32 s5, s3, 0
	s_cmp_lg_u32 s2, 0
	v_cndmask_b32_e64 v8, 0, -1, vcc_lo
	s_subb_u32 s2, s5, 0
	s_cmp_eq_u32 s5, 0
	v_mov_b32_e32 v10, s2
	s_cselect_b32 vcc_lo, -1, 0
	s_cmp_eq_u32 s3, 0
	v_cndmask_b32_e32 v8, -1, v8, vcc_lo
	v_cmp_le_u32_e32 vcc_lo, s30, v3
	s_cselect_b32 s2, -1, 0
	v_cndmask_b32_e64 v9, 0, -1, vcc_lo
	s_delay_alu instid0(VALU_DEP_3) | instskip(NEXT) | instid1(VALU_DEP_2)
	v_cmp_ne_u32_e32 vcc_lo, 0, v8
	v_cndmask_b32_e64 v8, -1, v9, s2
	v_cndmask_b32_e32 v9, s5, v10, vcc_lo
	v_cndmask_b32_e32 v4, v4, v7, vcc_lo
	s_delay_alu instid0(VALU_DEP_3) | instskip(NEXT) | instid1(VALU_DEP_2)
	v_cmp_ne_u32_e32 vcc_lo, 0, v8
	v_cndmask_b32_e32 v3, v3, v4, vcc_lo
	s_delay_alu instid0(VALU_DEP_4) | instskip(NEXT) | instid1(VALU_DEP_2)
	v_cndmask_b32_e32 v7, s3, v9, vcc_lo
	v_xor_b32_e32 v3, s12, v3
	s_delay_alu instid0(VALU_DEP_2) | instskip(NEXT) | instid1(VALU_DEP_2)
	v_xor_b32_e32 v4, s12, v7
	v_sub_co_u32 v15, vcc_lo, v3, s12
	s_delay_alu instid0(VALU_DEP_2)
	v_subrev_co_ci_u32_e32 v16, vcc_lo, s12, v4, vcc_lo
	s_and_not1_b32 vcc_lo, exec_lo, s4
	s_cbranch_vccnz .LBB11_5
.LBB11_4:
	v_cvt_f32_u32_e32 v3, s30
	s_sub_i32 s3, 0, s30
	s_delay_alu instid0(VALU_DEP_1) | instskip(SKIP_2) | instid1(VALU_DEP_1)
	v_rcp_iflag_f32_e32 v3, v3
	s_waitcnt_depctr 0xfff
	v_mul_f32_e32 v3, 0x4f7ffffe, v3
	v_cvt_u32_f32_e32 v3, v3
	s_delay_alu instid0(VALU_DEP_1) | instskip(NEXT) | instid1(VALU_DEP_1)
	v_readfirstlane_b32 s2, v3
	s_mul_i32 s3, s3, s2
	s_delay_alu instid0(SALU_CYCLE_1) | instskip(NEXT) | instid1(SALU_CYCLE_1)
	s_mul_hi_u32 s3, s2, s3
	s_add_i32 s2, s2, s3
	s_delay_alu instid0(SALU_CYCLE_1) | instskip(NEXT) | instid1(SALU_CYCLE_1)
	s_mul_hi_u32 s2, s22, s2
	s_mul_i32 s2, s2, s30
	s_delay_alu instid0(SALU_CYCLE_1) | instskip(NEXT) | instid1(SALU_CYCLE_1)
	s_sub_i32 s2, s22, s2
	s_sub_i32 s3, s2, s30
	s_cmp_ge_u32 s2, s30
	s_cselect_b32 s2, s3, s2
	s_mov_b32 s3, 0
	s_sub_i32 s4, s2, s30
	s_cmp_ge_u32 s2, s30
	s_cselect_b32 s2, s4, s2
	s_delay_alu instid0(SALU_CYCLE_1)
	v_dual_mov_b32 v16, s3 :: v_dual_mov_b32 v15, s2
.LBB11_5:
	s_delay_alu instid0(VALU_DEP_1) | instskip(NEXT) | instid1(VALU_DEP_2)
	v_sub_co_u32 v3, vcc_lo, s22, v15
	v_sub_co_ci_u32_e32 v4, vcc_lo, s23, v16, vcc_lo
	s_delay_alu instid0(VALU_DEP_1)
	v_cmp_gt_i64_e32 vcc_lo, 0, v[3:4]
	s_cbranch_vccnz .LBB11_43
; %bb.6:
	v_mad_u64_u32 v[17:18], null, v11, s8, 0
	s_clause 0x3
	s_load_b64 s[28:29], s[0:1], 0x80
	s_load_b256 s[12:19], s[0:1], 0x50
	s_load_b128 s[24:27], s[0:1], 0x0
	s_load_b64 s[2:3], s[0:1], 0x20
	s_waitcnt vmcnt(0)
	v_lshlrev_b64 v[19:20], 3, v[5:6]
	v_lshlrev_b64 v[5:6], 1, v[13:14]
	v_dual_mov_b32 v7, v18 :: v_dual_and_b32 v0, 0x3ff, v0
	s_delay_alu instid0(VALU_DEP_1) | instskip(SKIP_3) | instid1(VALU_DEP_4)
	v_mad_u64_u32 v[21:22], null, v11, s9, v[7:8]
	v_add_co_u32 v7, vcc_lo, v1, -1
	v_add_co_ci_u32_e32 v8, vcc_lo, -1, v2, vcc_lo
	v_add_co_u32 v9, vcc_lo, v5, -1
	v_mov_b32_e32 v18, v21
	s_delay_alu instid0(VALU_DEP_3)
	v_mul_lo_u32 v12, v8, s6
	v_mul_lo_u32 v24, v7, s7
	v_mad_u64_u32 v[22:23], null, v7, s6, 0
	v_add_co_ci_u32_e32 v10, vcc_lo, -1, v6, vcc_lo
	s_waitcnt lgkmcnt(0)
	v_add_co_u32 v33, vcc_lo, s2, v19
	v_add_co_ci_u32_e32 v34, vcc_lo, s3, v20, vcc_lo
	s_delay_alu instid0(VALU_DEP_4) | instskip(SKIP_1) | instid1(VALU_DEP_1)
	v_add3_u32 v23, v23, v24, v12
	v_add_co_u32 v12, s2, s22, v0
	v_add_co_ci_u32_e64 v19, null, s23, 0, s2
	v_alignbit_b32 v21, v10, v9, 1
	s_delay_alu instid0(VALU_DEP_3) | instskip(SKIP_1) | instid1(VALU_DEP_4)
	v_sub_co_u32 v15, vcc_lo, v12, v15
	v_lshrrev_b32_e32 v20, 1, v10
	v_sub_co_ci_u32_e32 v16, vcc_lo, v19, v16, vcc_lo
	v_mad_u64_u32 v[26:27], null, s12, v11, 0
	v_mul_lo_u32 v30, v21, s21
	v_mad_u64_u32 v[24:25], null, v21, s20, 0
	v_mul_lo_u32 v31, v20, s20
	v_mul_lo_u32 v32, s17, v15
	;; [unrolled: 1-line block ×3, first 2 shown]
	v_mad_u64_u32 v[19:20], null, s16, v15, 0
	v_mul_lo_u32 v36, s15, v7
	v_mul_lo_u32 v37, s14, v8
	v_mad_u64_u32 v[28:29], null, s14, v7, 0
	v_mov_b32_e32 v12, v27
	v_lshlrev_b64 v[17:18], 2, v[17:18]
	v_add3_u32 v20, v20, v35, v32
	v_add3_u32 v25, v25, v30, v31
	v_lshlrev_b64 v[21:22], 2, v[22:23]
	v_mad_u64_u32 v[30:31], null, s13, v11, v[12:13]
	v_add3_u32 v29, v29, v37, v36
	v_add_co_u32 v38, vcc_lo, s26, v17
	v_add_co_ci_u32_e32 v39, vcc_lo, s27, v18, vcc_lo
	v_lshlrev_b64 v[19:20], 2, v[19:20]
	s_delay_alu instid0(VALU_DEP_4) | instskip(NEXT) | instid1(VALU_DEP_4)
	v_lshlrev_b64 v[11:12], 2, v[28:29]
	v_add_co_u32 v35, vcc_lo, v38, v21
	v_mov_b32_e32 v27, v30
	v_add_co_ci_u32_e32 v36, vcc_lo, v39, v22, vcc_lo
	v_lshlrev_b64 v[21:22], 3, v[24:25]
	v_add_co_u32 v23, vcc_lo, v19, v11
	v_add_co_ci_u32_e32 v24, vcc_lo, v20, v12, vcc_lo
	v_lshlrev_b64 v[11:12], 2, v[26:27]
	s_delay_alu instid0(VALU_DEP_4) | instskip(SKIP_2) | instid1(VALU_DEP_3)
	v_add_co_u32 v21, vcc_lo, v33, v21
	v_add_co_ci_u32_e32 v22, vcc_lo, v34, v22, vcc_lo
	s_mul_i32 s2, s17, s30
	v_add_co_u32 v23, vcc_lo, v23, v11
	s_delay_alu instid0(VALU_DEP_4) | instskip(SKIP_1) | instid1(VALU_DEP_2)
	v_add_co_ci_u32_e32 v24, vcc_lo, v24, v12, vcc_lo
	s_mul_hi_u32 s3, s16, s30
	v_add_co_u32 v23, vcc_lo, s24, v23
	s_delay_alu instid0(VALU_DEP_2) | instskip(SKIP_4) | instid1(VALU_DEP_2)
	v_add_co_ci_u32_e32 v24, vcc_lo, s25, v24, vcc_lo
	v_sub_co_u32 v25, vcc_lo, v5, v0
	v_subrev_co_ci_u32_e32 v26, vcc_lo, 0, v6, vcc_lo
	s_add_i32 s3, s3, s2
	s_mul_i32 s2, s16, s30
	v_add_co_u32 v27, vcc_lo, v25, -1
	s_lshl_b64 s[2:3], s[2:3], 2
	v_add_co_ci_u32_e32 v28, vcc_lo, -1, v26, vcc_lo
	v_dual_mov_b32 v30, v4 :: v_dual_mov_b32 v29, v3
	s_sub_u32 s12, 0, s2
	s_subb_u32 s13, 0, s3
	s_branch .LBB11_8
.LBB11_7:                               ;   in Loop: Header=BB11_8 Depth=1
	s_or_b32 exec_lo, exec_lo, s2
	v_sub_co_u32 v29, vcc_lo, v29, s30
	v_subrev_co_ci_u32_e32 v30, vcc_lo, 0, v30, vcc_lo
	v_add_co_u32 v23, s2, v23, s12
	s_delay_alu instid0(VALU_DEP_1) | instskip(NEXT) | instid1(VALU_DEP_3)
	v_add_co_ci_u32_e64 v24, s2, s13, v24, s2
	v_cmp_gt_i64_e32 vcc_lo, 0, v[29:30]
	s_cbranch_vccnz .LBB11_16
.LBB11_8:                               ; =>This Inner Loop Header: Depth=1
	v_dual_mov_b32 v32, s29 :: v_dual_mov_b32 v31, s28
	s_mov_b32 s3, -1
	s_mov_b32 s2, exec_lo
                                        ; implicit-def: $sgpr4
	v_cmpx_ne_u64_e64 v[25:26], v[29:30]
	s_cbranch_execz .LBB11_12
; %bb.9:                                ;   in Loop: Header=BB11_8 Depth=1
	s_mov_b32 s3, 0
	s_mov_b32 s4, exec_lo
                                        ; implicit-def: $vgpr31_vgpr32
	v_cmpx_eq_u64_e64 v[27:28], v[29:30]
	s_cbranch_execz .LBB11_11
; %bb.10:                               ;   in Loop: Header=BB11_8 Depth=1
	global_load_b64 v[31:32], v[21:22], off
	s_mov_b32 s3, exec_lo
.LBB11_11:                              ;   in Loop: Header=BB11_8 Depth=1
	s_or_b32 exec_lo, exec_lo, s4
	s_mov_b32 s4, 0xff800000
	s_or_not1_b32 s3, s3, exec_lo
.LBB11_12:                              ;   in Loop: Header=BB11_8 Depth=1
	s_or_b32 exec_lo, exec_lo, s2
	v_mov_b32_e32 v37, s4
	s_and_saveexec_b32 s2, s3
	s_cbranch_execz .LBB11_14
; %bb.13:                               ;   in Loop: Header=BB11_8 Depth=1
	s_waitcnt vmcnt(0)
	v_mul_lo_u32 v32, v32, s10
	v_mul_lo_u32 v39, v31, s11
	v_mad_u64_u32 v[37:38], null, v31, s10, 0
	s_delay_alu instid0(VALU_DEP_1) | instskip(NEXT) | instid1(VALU_DEP_1)
	v_add3_u32 v38, v38, v39, v32
	v_lshlrev_b64 v[31:32], 2, v[37:38]
	s_delay_alu instid0(VALU_DEP_1) | instskip(NEXT) | instid1(VALU_DEP_2)
	v_add_co_u32 v31, vcc_lo, v35, v31
	v_add_co_ci_u32_e32 v32, vcc_lo, v36, v32, vcc_lo
	global_load_b32 v37, v[31:32], off
.LBB11_14:                              ;   in Loop: Header=BB11_8 Depth=1
	s_or_b32 exec_lo, exec_lo, s2
	s_waitcnt vmcnt(0)
	v_add_co_u32 v31, vcc_lo, v0, v29
	v_add_co_ci_u32_e32 v32, vcc_lo, 0, v30, vcc_lo
	s_mov_b32 s2, exec_lo
	s_delay_alu instid0(VALU_DEP_1)
	v_cmpx_ge_i64_e64 s[22:23], v[31:32]
	s_cbranch_execz .LBB11_7
; %bb.15:                               ;   in Loop: Header=BB11_8 Depth=1
	global_store_b32 v[23:24], v37, off
	s_branch .LBB11_7
.LBB11_16:
	s_load_b64 s[2:3], s[0:1], 0x18
	v_add_co_u32 v21, vcc_lo, v15, 2
	v_add_co_ci_u32_e32 v22, vcc_lo, 0, v16, vcc_lo
	v_cmp_lt_i64_e64 s0, 0, v[13:14]
	v_cmp_ne_u64_e64 s1, 0, v[13:14]
	v_lshlrev_b64 v[13:14], 2, v[15:16]
	v_mul_lo_u32 v23, s17, v21
	v_mul_lo_u32 v22, s16, v22
	v_mad_u64_u32 v[15:16], null, s16, v21, 0
	s_delay_alu instid0(VALU_DEP_4) | instskip(SKIP_1) | instid1(VALU_DEP_3)
	v_add_co_u32 v24, vcc_lo, v13, 4
	v_add_co_ci_u32_e32 v13, vcc_lo, 0, v14, vcc_lo
	v_add3_u32 v16, v16, v22, v23
	s_delay_alu instid0(VALU_DEP_3)
	v_mul_lo_u32 v23, s17, v24
	s_waitcnt lgkmcnt(0)
	s_add_u32 s8, s2, -2
	s_addc_u32 s9, s3, -1
	s_mul_hi_u32 s4, s14, s8
	s_mul_i32 s5, s14, s9
	s_mul_i32 s18, s15, s8
	s_add_i32 s5, s4, s5
	s_mul_i32 s4, s14, s8
	s_add_i32 s5, s5, s18
	s_mul_hi_u32 s31, s6, s8
	s_lshl_b64 s[4:5], s[4:5], 2
	s_mul_i32 s36, s6, s9
	s_add_u32 s34, s24, s4
	s_addc_u32 s35, s25, s5
	s_lshl_b64 s[4:5], s[14:15], 2
	s_mul_i32 s33, s7, s8
	s_sub_u32 s18, 0, s4
	s_subb_u32 s19, 0, s5
	s_add_i32 s5, s31, s36
	s_mul_i32 s4, s6, s8
	s_add_i32 s5, s5, s33
	v_lshlrev_b64 v[21:22], 2, v[15:16]
	s_lshl_b64 s[4:5], s[4:5], 2
	v_add_co_u32 v15, vcc_lo, s34, v19
	s_add_u32 s31, s26, s4
	s_addc_u32 s33, s27, s5
	s_lshl_b64 s[4:5], s[6:7], 2
	s_lshl_b64 s[6:7], s[10:11], 2
	s_sub_u32 s26, 0, s4
	s_subb_u32 s27, 0, s5
	s_add_u32 s4, s2, -1
	s_addc_u32 s5, s3, -1
	s_mul_hi_u32 s10, s14, s4
	s_mul_i32 s5, s14, s5
	s_mul_i32 s11, s15, s4
	s_add_i32 s5, s10, s5
	s_mul_i32 s4, s14, s4
	s_add_i32 s5, s5, s11
	v_add_co_ci_u32_e32 v16, vcc_lo, s35, v20, vcc_lo
	s_lshl_b64 s[4:5], s[4:5], 2
	v_mul_lo_u32 v25, s16, v13
	s_add_u32 s4, s24, s4
	s_addc_u32 s5, s25, s5
	v_add_co_u32 v17, vcc_lo, s31, v17
	v_mad_u64_u32 v[13:14], null, s16, v24, s[4:5]
	v_add_co_ci_u32_e32 v18, vcc_lo, s33, v18, vcc_lo
	v_add_co_u32 v19, vcc_lo, s4, v19
	v_add_co_ci_u32_e32 v20, vcc_lo, s5, v20, vcc_lo
	v_add_co_u32 v21, vcc_lo, s4, v21
	v_cmp_gt_i64_e64 s14, s[2:3], 1
	v_add3_u32 v14, v23, v14, v25
	v_add_co_ci_u32_e32 v22, vcc_lo, s5, v22, vcc_lo
	s_branch .LBB11_18
.LBB11_17:                              ;   in Loop: Header=BB11_18 Depth=1
	v_sub_co_u32 v3, vcc_lo, v3, s30
	v_subrev_co_ci_u32_e32 v4, vcc_lo, 0, v4, vcc_lo
	v_add_co_u32 v15, vcc_lo, v15, s12
	v_add_co_ci_u32_e32 v16, vcc_lo, s13, v16, vcc_lo
	v_add_co_u32 v13, vcc_lo, v13, s12
	v_add_co_u32 v19, s2, v19, s12
	v_add_co_ci_u32_e32 v14, vcc_lo, s13, v14, vcc_lo
	v_cmp_gt_i64_e32 vcc_lo, 0, v[3:4]
	v_add_co_ci_u32_e64 v20, s2, s13, v20, s2
	v_add_co_u32 v21, s2, v21, s12
	s_delay_alu instid0(VALU_DEP_1)
	v_add_co_ci_u32_e64 v22, s2, s13, v22, s2
	s_cbranch_vccnz .LBB11_43
.LBB11_18:                              ; =>This Loop Header: Depth=1
                                        ;     Child Loop BB11_29 Depth 2
	v_add_co_u32 v25, vcc_lo, v3, v0
	v_add_co_ci_u32_e32 v26, vcc_lo, 0, v4, vcc_lo
	s_waitcnt vmcnt(0)
	v_dual_mov_b32 v27, s28 :: v_dual_mov_b32 v28, s29
	s_mov_b32 s15, 0
	s_delay_alu instid0(VALU_DEP_2) | instskip(NEXT) | instid1(VALU_DEP_1)
	v_cmp_le_i64_e64 s2, v[25:26], v[5:6]
	s_and_b32 s3, s0, s2
	s_delay_alu instid0(SALU_CYCLE_1)
	s_and_saveexec_b32 s4, s3
	s_cbranch_execz .LBB11_26
; %bb.19:                               ;   in Loop: Header=BB11_18 Depth=1
	v_and_b32_e32 v23, 1, v25
	v_dual_mov_b32 v27, s28 :: v_dual_mov_b32 v28, s29
	s_delay_alu instid0(VALU_DEP_2)
	v_cmp_eq_u32_e32 vcc_lo, 1, v23
	s_and_saveexec_b32 s5, vcc_lo
	s_cbranch_execz .LBB11_21
; %bb.20:                               ;   in Loop: Header=BB11_18 Depth=1
	v_alignbit_b32 v27, v26, v25, 1
	v_lshrrev_b32_e32 v28, 1, v26
	s_delay_alu instid0(VALU_DEP_2) | instskip(SKIP_1) | instid1(VALU_DEP_3)
	v_mul_lo_u32 v29, v27, s21
	v_mad_u64_u32 v[23:24], null, v27, s20, 0
	v_mul_lo_u32 v27, v28, s20
	s_delay_alu instid0(VALU_DEP_1) | instskip(NEXT) | instid1(VALU_DEP_1)
	v_add3_u32 v24, v24, v29, v27
	v_lshlrev_b64 v[23:24], 3, v[23:24]
	s_delay_alu instid0(VALU_DEP_1) | instskip(NEXT) | instid1(VALU_DEP_1)
	v_add_co_u32 v23, s3, v33, v23
	v_add_co_ci_u32_e64 v24, s3, v34, v24, s3
	global_load_b64 v[27:28], v[23:24], off
.LBB11_21:                              ;   in Loop: Header=BB11_18 Depth=1
	s_or_b32 exec_lo, exec_lo, s5
	s_mov_b32 s10, 0
	s_mov_b32 s5, exec_lo
	v_cmpx_lt_i64_e64 v[25:26], v[9:10]
	s_cbranch_execz .LBB11_25
; %bb.22:                               ;   in Loop: Header=BB11_18 Depth=1
	v_dual_mov_b32 v23, s28 :: v_dual_mov_b32 v24, s29
	s_and_saveexec_b32 s3, vcc_lo
	s_cbranch_execz .LBB11_24
; %bb.23:                               ;   in Loop: Header=BB11_18 Depth=1
	v_add_co_u32 v23, vcc_lo, v25, 2
	v_add_co_ci_u32_e32 v24, vcc_lo, 0, v26, vcc_lo
	s_delay_alu instid0(VALU_DEP_1) | instskip(SKIP_1) | instid1(VALU_DEP_2)
	v_alignbit_b32 v29, v24, v23, 1
	v_lshrrev_b32_e32 v30, 1, v24
	v_mul_lo_u32 v31, v29, s21
	v_mad_u64_u32 v[23:24], null, v29, s20, 0
	s_delay_alu instid0(VALU_DEP_3) | instskip(NEXT) | instid1(VALU_DEP_1)
	v_mul_lo_u32 v29, v30, s20
	v_add3_u32 v24, v24, v31, v29
	s_delay_alu instid0(VALU_DEP_1) | instskip(NEXT) | instid1(VALU_DEP_1)
	v_lshlrev_b64 v[23:24], 3, v[23:24]
	v_add_co_u32 v23, vcc_lo, v33, v23
	s_delay_alu instid0(VALU_DEP_2)
	v_add_co_ci_u32_e32 v24, vcc_lo, v34, v24, vcc_lo
	global_load_b64 v[23:24], v[23:24], off
.LBB11_24:                              ;   in Loop: Header=BB11_18 Depth=1
	s_or_b32 exec_lo, exec_lo, s3
	s_waitcnt vmcnt(0)
	v_cmp_ne_u64_e32 vcc_lo, v[23:24], v[27:28]
	s_and_b32 s10, vcc_lo, exec_lo
.LBB11_25:                              ;   in Loop: Header=BB11_18 Depth=1
	s_or_b32 exec_lo, exec_lo, s5
	s_delay_alu instid0(SALU_CYCLE_1)
	s_and_b32 s15, s10, exec_lo
.LBB11_26:                              ;   in Loop: Header=BB11_18 Depth=1
	s_or_b32 exec_lo, exec_lo, s4
	s_delay_alu instid0(SALU_CYCLE_1)
	s_and_not1_b32 vcc_lo, exec_lo, s14
	s_cbranch_vccnz .LBB11_17
; %bb.27:                               ;   in Loop: Header=BB11_18 Depth=1
	s_waitcnt vmcnt(0)
	v_mad_u64_u32 v[23:24], null, s6, v27, v[17:18]
	v_mul_lo_u32 v28, s6, v28
	v_mul_lo_u32 v27, s7, v27
	v_cmp_gt_i64_e64 s4, 1, v[25:26]
	v_cmp_lt_i64_e32 vcc_lo, s[22:23], v[25:26]
	v_cmp_lt_i64_e64 s3, v[25:26], v[5:6]
	v_dual_mov_b32 v26, v22 :: v_dual_mov_b32 v25, v21
	v_dual_mov_b32 v30, v14 :: v_dual_mov_b32 v29, v13
	v_add3_u32 v24, v27, v24, v28
	v_dual_mov_b32 v28, v20 :: v_dual_mov_b32 v27, v19
	v_dual_mov_b32 v32, v16 :: v_dual_mov_b32 v31, v15
	s_or_b32 s16, s1, s4
	s_xor_b32 s17, s2, -1
	s_mov_b64 s[10:11], s[8:9]
	s_branch .LBB11_29
.LBB11_28:                              ;   in Loop: Header=BB11_29 Depth=2
	s_or_b32 exec_lo, exec_lo, s5
	v_add_co_u32 v31, s4, v31, s18
	s_delay_alu instid0(VALU_DEP_1) | instskip(SKIP_1) | instid1(VALU_DEP_1)
	v_add_co_ci_u32_e64 v32, s4, s19, v32, s4
	v_add_co_u32 v23, s4, v23, s26
	v_add_co_ci_u32_e64 v24, s4, s27, v24, s4
	v_add_co_u32 v29, s4, v29, s18
	s_delay_alu instid0(VALU_DEP_1) | instskip(SKIP_1) | instid1(VALU_DEP_1)
	v_add_co_ci_u32_e64 v30, s4, s19, v30, s4
	v_add_co_u32 v27, s4, v27, s18
	v_add_co_ci_u32_e64 v28, s4, s19, v28, s4
	v_add_co_u32 v25, s4, v25, s18
	s_add_u32 s10, s10, -1
	v_add_co_ci_u32_e64 v26, s4, s19, v26, s4
	s_addc_u32 s11, s11, -1
	s_delay_alu instid0(SALU_CYCLE_1)
	s_cmp_eq_u64 s[10:11], -1
	s_cbranch_scc1 .LBB11_17
.LBB11_29:                              ;   Parent Loop BB11_18 Depth=1
                                        ; =>  This Inner Loop Header: Depth=2
	v_cmp_ge_i64_e64 s4, s[10:11], v[7:8]
	s_mov_b32 s24, 0
	s_waitcnt_vscnt null, 0x0
	s_barrier
	buffer_gl0_inv
	s_or_b32 s5, s17, s4
                                        ; implicit-def: $sgpr4
	s_delay_alu instid0(SALU_CYCLE_1) | instskip(NEXT) | instid1(SALU_CYCLE_1)
	s_and_saveexec_b32 s25, s5
	s_xor_b32 s5, exec_lo, s25
	s_cbranch_execnz .LBB11_32
; %bb.30:                               ;   in Loop: Header=BB11_29 Depth=2
	s_or_saveexec_b32 s25, s5
	v_mov_b32_e32 v35, s4
	s_xor_b32 exec_lo, exec_lo, s25
	s_cbranch_execnz .LBB11_33
.LBB11_31:                              ;   in Loop: Header=BB11_29 Depth=2
	s_or_b32 exec_lo, exec_lo, s25
	s_and_saveexec_b32 s5, s24
	s_cbranch_execz .LBB11_28
	s_branch .LBB11_42
.LBB11_32:                              ;   in Loop: Header=BB11_29 Depth=2
	v_cmp_lt_i64_e64 s4, s[10:11], v[1:2]
	s_delay_alu instid0(VALU_DEP_1) | instskip(NEXT) | instid1(SALU_CYCLE_1)
	s_and_b32 s4, s16, s4
	s_and_b32 s4, s4, s2
	s_delay_alu instid0(SALU_CYCLE_1) | instskip(NEXT) | instid1(SALU_CYCLE_1)
	s_or_b32 s4, vcc_lo, s4
	s_xor_b32 s24, s4, -1
	s_mov_b32 s4, 0xff800000
	s_and_b32 s24, s24, exec_lo
	s_or_saveexec_b32 s25, s5
	v_mov_b32_e32 v35, s4
	s_xor_b32 exec_lo, exec_lo, s25
	s_cbranch_execz .LBB11_31
.LBB11_33:                              ;   in Loop: Header=BB11_29 Depth=2
	v_add_co_u32 v35, s4, v27, v11
	s_delay_alu instid0(VALU_DEP_1)
	v_add_co_ci_u32_e64 v36, s4, v28, v12, s4
	v_mov_b32_e32 v37, 0xff800000
	global_load_b32 v35, v[35:36], off
	v_mov_b32_e32 v36, 0xff800000
	s_waitcnt vmcnt(0)
	v_mov_b32_e32 v38, v35
	s_and_saveexec_b32 s5, s3
	s_cbranch_execz .LBB11_37
; %bb.34:                               ;   in Loop: Header=BB11_29 Depth=2
	v_add_co_u32 v37, s4, v29, v11
	s_delay_alu instid0(VALU_DEP_1)
	v_add_co_ci_u32_e64 v38, s4, v30, v12, s4
	s_mov_b32 s31, exec_lo
	global_load_b32 v37, v[37:38], off
	v_mov_b32_e32 v38, v35
	s_waitcnt vmcnt(0)
	v_cmpx_gt_f32_e32 v37, v35
; %bb.35:                               ;   in Loop: Header=BB11_29 Depth=2
	v_mov_b32_e32 v38, v37
; %bb.36:                               ;   in Loop: Header=BB11_29 Depth=2
	s_or_b32 exec_lo, exec_lo, s31
.LBB11_37:                              ;   in Loop: Header=BB11_29 Depth=2
	s_delay_alu instid0(SALU_CYCLE_1)
	s_or_b32 exec_lo, exec_lo, s5
	s_and_saveexec_b32 s5, s15
	s_cbranch_execz .LBB11_41
; %bb.38:                               ;   in Loop: Header=BB11_29 Depth=2
	v_add_co_u32 v39, s4, v25, v11
	s_delay_alu instid0(VALU_DEP_1)
	v_add_co_ci_u32_e64 v40, s4, v26, v12, s4
	s_mov_b32 s31, exec_lo
	global_load_b32 v36, v[39:40], off
	s_waitcnt vmcnt(0)
	v_cmpx_gt_f32_e32 v36, v38
; %bb.39:                               ;   in Loop: Header=BB11_29 Depth=2
	v_mov_b32_e32 v38, v36
; %bb.40:                               ;   in Loop: Header=BB11_29 Depth=2
	s_or_b32 exec_lo, exec_lo, s31
.LBB11_41:                              ;   in Loop: Header=BB11_29 Depth=2
	s_delay_alu instid0(SALU_CYCLE_1) | instskip(SKIP_3) | instid1(VALU_DEP_1)
	s_or_b32 exec_lo, exec_lo, s5
	global_load_b32 v39, v[23:24], off
	v_cmp_neq_f32_e64 s4, 0xff800000, v38
	s_or_b32 s24, s24, exec_lo
	v_cndmask_b32_e64 v38, 0, v38, s4
	s_delay_alu instid0(VALU_DEP_1) | instskip(NEXT) | instid1(VALU_DEP_1)
	v_sub_f32_e32 v36, v36, v38
	v_dual_sub_f32 v35, v35, v38 :: v_dual_mul_f32 v46, 0x3fb8aa3b, v36
	s_delay_alu instid0(VALU_DEP_1) | instskip(SKIP_1) | instid1(VALU_DEP_3)
	v_dual_sub_f32 v37, v37, v38 :: v_dual_mul_f32 v40, 0x3fb8aa3b, v35
	v_cmp_ngt_f32_e64 s4, 0xc2ce8ed0, v35
	v_rndne_f32_e32 v48, v46
	s_delay_alu instid0(VALU_DEP_3) | instskip(NEXT) | instid1(VALU_DEP_4)
	v_rndne_f32_e32 v43, v40
	v_mul_f32_e32 v41, 0x3fb8aa3b, v37
	v_fma_f32 v42, 0x3fb8aa3b, v35, -v40
	s_delay_alu instid0(VALU_DEP_3) | instskip(NEXT) | instid1(VALU_DEP_3)
	v_sub_f32_e32 v40, v40, v43
	v_rndne_f32_e32 v45, v41
	v_fma_f32 v44, 0x3fb8aa3b, v37, -v41
	v_cvt_i32_f32_e32 v43, v43
	s_delay_alu instid0(VALU_DEP_3) | instskip(SKIP_1) | instid1(VALU_DEP_1)
	v_sub_f32_e32 v41, v41, v45
	v_fma_f32 v47, 0x3fb8aa3b, v36, -v46
	v_dual_fmac_f32 v44, 0x32a5705f, v37 :: v_dual_fmac_f32 v47, 0x32a5705f, v36
	s_delay_alu instid0(VALU_DEP_1) | instskip(SKIP_1) | instid1(VALU_DEP_2)
	v_dual_fmac_f32 v42, 0x32a5705f, v35 :: v_dual_add_f32 v41, v41, v44
	v_cvt_i32_f32_e32 v44, v45
	v_add_f32_e32 v40, v40, v42
	s_delay_alu instid0(VALU_DEP_3) | instskip(NEXT) | instid1(VALU_DEP_1)
	v_exp_f32_e32 v41, v41
	v_exp_f32_e32 v40, v40
	s_waitcnt_depctr 0xfff
	v_ldexp_f32 v41, v41, v44
	v_ldexp_f32 v40, v40, v43
	v_cvt_i32_f32_e32 v43, v48
	s_delay_alu instid0(VALU_DEP_2) | instskip(SKIP_1) | instid1(VALU_DEP_1)
	v_cndmask_b32_e64 v40, 0, v40, s4
	v_cmp_ngt_f32_e64 s4, 0xc2ce8ed0, v37
	v_cndmask_b32_e64 v41, 0, v41, s4
	v_cmp_nlt_f32_e64 s4, 0x42b17218, v35
	s_delay_alu instid0(VALU_DEP_1) | instskip(SKIP_1) | instid1(VALU_DEP_1)
	v_cndmask_b32_e64 v35, 0x7f800000, v40, s4
	v_cmp_nlt_f32_e64 s4, 0x42b17218, v37
	v_cndmask_b32_e64 v37, 0x7f800000, v41, s4
	v_cmp_ngt_f32_e64 s4, 0xc2ce8ed0, v36
	s_delay_alu instid0(VALU_DEP_2) | instskip(NEXT) | instid1(VALU_DEP_1)
	v_dual_add_f32 v35, v35, v37 :: v_dual_sub_f32 v42, v46, v48
	v_add_f32_e32 v42, v42, v47
	s_delay_alu instid0(VALU_DEP_1) | instskip(SKIP_2) | instid1(VALU_DEP_1)
	v_exp_f32_e32 v42, v42
	s_waitcnt_depctr 0xfff
	v_ldexp_f32 v42, v42, v43
	v_cndmask_b32_e64 v40, 0, v42, s4
	v_cmp_nlt_f32_e64 s4, 0x42b17218, v36
	s_delay_alu instid0(VALU_DEP_1) | instskip(NEXT) | instid1(VALU_DEP_1)
	v_cndmask_b32_e64 v36, 0x7f800000, v40, s4
	v_add_f32_e32 v35, v36, v35
	s_delay_alu instid0(VALU_DEP_1) | instskip(NEXT) | instid1(VALU_DEP_1)
	v_cmp_gt_f32_e64 s4, 0x800000, v35
	v_cndmask_b32_e64 v36, 1.0, 0x4f800000, s4
	s_delay_alu instid0(VALU_DEP_1) | instskip(NEXT) | instid1(VALU_DEP_1)
	v_mul_f32_e32 v35, v35, v36
	v_log_f32_e32 v35, v35
	s_waitcnt_depctr 0xfff
	v_mul_f32_e32 v36, 0x3f317217, v35
	v_cmp_gt_f32_e64 s5, 0x7f800000, |v35|
	s_delay_alu instid0(VALU_DEP_2) | instskip(NEXT) | instid1(VALU_DEP_1)
	v_fma_f32 v37, 0x3f317217, v35, -v36
	v_fmac_f32_e32 v37, 0x3377d1cf, v35
	s_delay_alu instid0(VALU_DEP_1) | instskip(NEXT) | instid1(VALU_DEP_1)
	v_add_f32_e32 v36, v36, v37
	v_cndmask_b32_e64 v35, v35, v36, s5
	v_cndmask_b32_e64 v36, 0, 0x41b17218, s4
	s_delay_alu instid0(VALU_DEP_1) | instskip(NEXT) | instid1(VALU_DEP_1)
	v_sub_f32_e32 v35, v35, v36
	v_add_f32_e32 v35, v38, v35
	s_waitcnt vmcnt(0)
	s_delay_alu instid0(VALU_DEP_1)
	v_add_f32_e32 v35, v39, v35
	s_or_b32 exec_lo, exec_lo, s25
	s_and_saveexec_b32 s5, s24
	s_cbranch_execz .LBB11_28
.LBB11_42:                              ;   in Loop: Header=BB11_29 Depth=2
	v_add_co_u32 v36, s4, v31, v11
	s_delay_alu instid0(VALU_DEP_1)
	v_add_co_ci_u32_e64 v37, s4, v32, v12, s4
	global_store_b32 v[36:37], v35, off
	s_branch .LBB11_28
.LBB11_43:
	s_nop 0
	s_sendmsg sendmsg(MSG_DEALLOC_VGPRS)
	s_endpgm
.LBB11_44:
                                        ; implicit-def: $vgpr15_vgpr16
	s_branch .LBB11_4
	.section	.rodata,"a",@progbits
	.p2align	6, 0x0
	.amdhsa_kernel _ZN2at6native12_GLOBAL__N_137ctc_loss_backward_log_beta_gpu_kernelIflEEvPT_PKS3_PKllPKT0_S8_lllllllS8_lll
		.amdhsa_group_segment_fixed_size 0
		.amdhsa_private_segment_fixed_size 0
		.amdhsa_kernarg_size 392
		.amdhsa_user_sgpr_count 14
		.amdhsa_user_sgpr_dispatch_ptr 0
		.amdhsa_user_sgpr_queue_ptr 0
		.amdhsa_user_sgpr_kernarg_segment_ptr 1
		.amdhsa_user_sgpr_dispatch_id 0
		.amdhsa_user_sgpr_private_segment_size 0
		.amdhsa_wavefront_size32 1
		.amdhsa_uses_dynamic_stack 0
		.amdhsa_enable_private_segment 0
		.amdhsa_system_sgpr_workgroup_id_x 1
		.amdhsa_system_sgpr_workgroup_id_y 1
		.amdhsa_system_sgpr_workgroup_id_z 0
		.amdhsa_system_sgpr_workgroup_info 0
		.amdhsa_system_vgpr_workitem_id 1
		.amdhsa_next_free_vgpr 49
		.amdhsa_next_free_sgpr 37
		.amdhsa_reserve_vcc 1
		.amdhsa_float_round_mode_32 0
		.amdhsa_float_round_mode_16_64 0
		.amdhsa_float_denorm_mode_32 3
		.amdhsa_float_denorm_mode_16_64 3
		.amdhsa_dx10_clamp 1
		.amdhsa_ieee_mode 1
		.amdhsa_fp16_overflow 0
		.amdhsa_workgroup_processor_mode 1
		.amdhsa_memory_ordered 1
		.amdhsa_forward_progress 0
		.amdhsa_shared_vgpr_count 0
		.amdhsa_exception_fp_ieee_invalid_op 0
		.amdhsa_exception_fp_denorm_src 0
		.amdhsa_exception_fp_ieee_div_zero 0
		.amdhsa_exception_fp_ieee_overflow 0
		.amdhsa_exception_fp_ieee_underflow 0
		.amdhsa_exception_fp_ieee_inexact 0
		.amdhsa_exception_int_div_zero 0
	.end_amdhsa_kernel
	.section	.text._ZN2at6native12_GLOBAL__N_137ctc_loss_backward_log_beta_gpu_kernelIflEEvPT_PKS3_PKllPKT0_S8_lllllllS8_lll,"axG",@progbits,_ZN2at6native12_GLOBAL__N_137ctc_loss_backward_log_beta_gpu_kernelIflEEvPT_PKS3_PKllPKT0_S8_lllllllS8_lll,comdat
.Lfunc_end11:
	.size	_ZN2at6native12_GLOBAL__N_137ctc_loss_backward_log_beta_gpu_kernelIflEEvPT_PKS3_PKllPKT0_S8_lllllllS8_lll, .Lfunc_end11-_ZN2at6native12_GLOBAL__N_137ctc_loss_backward_log_beta_gpu_kernelIflEEvPT_PKS3_PKllPKT0_S8_lllllllS8_lll
                                        ; -- End function
	.section	.AMDGPU.csdata,"",@progbits
; Kernel info:
; codeLenInByte = 3708
; NumSgprs: 39
; NumVgprs: 49
; ScratchSize: 0
; MemoryBound: 0
; FloatMode: 240
; IeeeMode: 1
; LDSByteSize: 0 bytes/workgroup (compile time only)
; SGPRBlocks: 4
; VGPRBlocks: 6
; NumSGPRsForWavesPerEU: 39
; NumVGPRsForWavesPerEU: 49
; Occupancy: 16
; WaveLimiterHint : 1
; COMPUTE_PGM_RSRC2:SCRATCH_EN: 0
; COMPUTE_PGM_RSRC2:USER_SGPR: 14
; COMPUTE_PGM_RSRC2:TRAP_HANDLER: 0
; COMPUTE_PGM_RSRC2:TGID_X_EN: 1
; COMPUTE_PGM_RSRC2:TGID_Y_EN: 1
; COMPUTE_PGM_RSRC2:TGID_Z_EN: 0
; COMPUTE_PGM_RSRC2:TIDIG_COMP_CNT: 1
	.section	.text._ZN2at6native12_GLOBAL__N_145ctc_loss_backward_collect_nonblank_gpu_kernelIflEEvPT_PKS3_lS6_S6_S6_PKlPKT0_S8_S6_llllllllllllS8_llb,"axG",@progbits,_ZN2at6native12_GLOBAL__N_145ctc_loss_backward_collect_nonblank_gpu_kernelIflEEvPT_PKS3_lS6_S6_S6_PKlPKT0_S8_S6_llllllllllllS8_llb,comdat
	.globl	_ZN2at6native12_GLOBAL__N_145ctc_loss_backward_collect_nonblank_gpu_kernelIflEEvPT_PKS3_lS6_S6_S6_PKlPKT0_S8_S6_llllllllllllS8_llb ; -- Begin function _ZN2at6native12_GLOBAL__N_145ctc_loss_backward_collect_nonblank_gpu_kernelIflEEvPT_PKS3_lS6_S6_S6_PKlPKT0_S8_S6_llllllllllllS8_llb
	.p2align	8
	.type	_ZN2at6native12_GLOBAL__N_145ctc_loss_backward_collect_nonblank_gpu_kernelIflEEvPT_PKS3_lS6_S6_S6_PKlPKT0_S8_S6_llllllllllllS8_llb,@function
_ZN2at6native12_GLOBAL__N_145ctc_loss_backward_collect_nonblank_gpu_kernelIflEEvPT_PKS3_lS6_S6_S6_PKlPKT0_S8_S6_llllllllllllS8_llb: ; @_ZN2at6native12_GLOBAL__N_145ctc_loss_backward_collect_nonblank_gpu_kernelIflEEvPT_PKS3_lS6_S6_S6_PKlPKT0_S8_S6_llllllllllllS8_llb
; %bb.0:
	s_clause 0x1
	s_load_b32 s2, s[0:1], 0xdc
	s_load_b128 s[4:7], s[0:1], 0xb8
	v_bfe_u32 v1, v0, 10, 10
	s_waitcnt lgkmcnt(0)
	s_lshr_b32 s3, s2, 16
	s_delay_alu instid0(VALU_DEP_1) | instid1(SALU_CYCLE_1)
	v_mad_u64_u32 v[2:3], null, s15, s3, v[1:2]
	v_mov_b32_e32 v3, 0
	s_mov_b32 s3, exec_lo
	s_delay_alu instid0(VALU_DEP_1)
	v_cmpx_gt_i64_e64 s[6:7], v[2:3]
	s_cbranch_execz .LBB12_7
; %bb.1:
	s_load_b64 s[6:7], s[0:1], 0x40
	v_lshlrev_b64 v[6:7], 3, v[2:3]
	v_dual_mov_b32 v1, v3 :: v_dual_and_b32 v0, 0x3ff, v0
	s_and_b32 s2, s2, 0xffff
	s_waitcnt lgkmcnt(0)
	s_delay_alu instid0(VALU_DEP_2) | instskip(NEXT) | instid1(VALU_DEP_3)
	v_add_co_u32 v4, vcc_lo, s6, v6
	v_add_co_ci_u32_e32 v5, vcc_lo, s7, v7, vcc_lo
	global_load_b64 v[8:9], v[4:5], off
	v_mad_u64_u32 v[4:5], null, s2, s14, v[0:1]
	s_waitcnt vmcnt(0)
	s_delay_alu instid0(VALU_DEP_1)
	v_cmp_lt_i64_e32 vcc_lo, v[4:5], v[8:9]
	s_and_b32 exec_lo, exec_lo, vcc_lo
	s_cbranch_execz .LBB12_7
; %bb.2:
	s_clause 0x2
	s_load_b64 s[2:3], s[0:1], 0x48
	s_load_b32 s8, s[0:1], 0xc8
	s_load_b64 s[6:7], s[0:1], 0x30
	v_lshlrev_b64 v[0:1], 2, v[2:3]
	s_mov_b64 s[28:29], 0
	s_waitcnt lgkmcnt(0)
	s_delay_alu instid0(VALU_DEP_1) | instskip(NEXT) | instid1(VALU_DEP_2)
	v_add_co_u32 v0, vcc_lo, s2, v0
	v_add_co_ci_u32_e32 v1, vcc_lo, s3, v1, vcc_lo
	v_add_co_u32 v9, vcc_lo, s6, v6
	v_add_co_ci_u32_e32 v10, vcc_lo, s7, v7, vcc_lo
	s_bitcmp1_b32 s8, 0
	global_load_b32 v8, v[0:1], off
	global_load_b64 v[0:1], v[9:10], off
	s_cselect_b32 s3, -1, 0
	s_delay_alu instid0(SALU_CYCLE_1)
	s_xor_b32 s3, s3, -1
	s_waitcnt vmcnt(1)
	v_cmp_neq_f32_e32 vcc_lo, 0x7f800000, v8
	s_waitcnt vmcnt(0)
	v_cmp_lt_i64_e64 s2, 0, v[0:1]
	s_or_b32 s3, s3, vcc_lo
	s_delay_alu instid0(VALU_DEP_1) | instid1(SALU_CYCLE_1)
	s_and_b32 s2, s3, s2
	s_delay_alu instid0(SALU_CYCLE_1)
	s_and_b32 exec_lo, exec_lo, s2
	s_cbranch_execz .LBB12_7
; %bb.3:
	s_load_b64 s[2:3], s[0:1], 0xb0
	v_mul_lo_u32 v3, v5, s4
	v_mul_lo_u32 v11, v4, s5
	v_mad_u64_u32 v[9:10], null, v4, s4, 0
	s_load_b256 s[36:43], s[0:1], 0x0
	s_delay_alu instid0(VALU_DEP_1) | instskip(NEXT) | instid1(VALU_DEP_1)
	v_add3_u32 v10, v10, v11, v3
	v_lshlrev_b64 v[9:10], 3, v[9:10]
	s_waitcnt lgkmcnt(0)
	v_add_co_u32 v6, vcc_lo, s2, v6
	v_add_co_ci_u32_e32 v7, vcc_lo, s3, v7, vcc_lo
	s_load_b64 s[2:3], s[0:1], 0x38
	global_load_b64 v[6:7], v[6:7], off
	s_waitcnt vmcnt(0)
	v_lshlrev_b64 v[6:7], 3, v[6:7]
	s_waitcnt lgkmcnt(0)
	s_delay_alu instid0(VALU_DEP_1) | instskip(NEXT) | instid1(VALU_DEP_2)
	v_add_co_u32 v3, vcc_lo, s2, v6
	v_add_co_ci_u32_e32 v7, vcc_lo, s3, v7, vcc_lo
	s_delay_alu instid0(VALU_DEP_2) | instskip(NEXT) | instid1(VALU_DEP_2)
	v_add_co_u32 v6, vcc_lo, v3, v9
	v_add_co_ci_u32_e32 v7, vcc_lo, v7, v10, vcc_lo
	global_load_b64 v[9:10], v[6:7], off
	v_mad_u64_u32 v[6:7], null, v2, s40, 0
	s_delay_alu instid0(VALU_DEP_1) | instskip(NEXT) | instid1(VALU_DEP_1)
	v_mov_b32_e32 v3, v7
	v_mad_u64_u32 v[11:12], null, v2, s41, v[3:4]
	v_lshlrev_b64 v[3:4], 1, v[4:5]
	s_delay_alu instid0(VALU_DEP_1) | instskip(NEXT) | instid1(VALU_DEP_3)
	v_or_b32_e32 v5, 1, v3
	v_mov_b32_e32 v7, v11
	s_delay_alu instid0(VALU_DEP_1) | instskip(NEXT) | instid1(VALU_DEP_1)
	v_lshlrev_b64 v[6:7], 2, v[6:7]
	v_add_co_u32 v6, vcc_lo, s38, v6
	s_delay_alu instid0(VALU_DEP_2)
	v_add_co_ci_u32_e32 v7, vcc_lo, s39, v7, vcc_lo
	global_load_b32 v6, v[6:7], off
	s_clause 0x2
	s_load_b512 s[4:19], s[0:1], 0x50
	s_load_b256 s[20:27], s[0:1], 0x90
	s_load_b128 s[0:3], s[0:1], 0x20
	s_waitcnt lgkmcnt(0)
	v_mad_u64_u32 v[11:12], null, v2, s6, 0
	v_mad_u64_u32 v[13:14], null, v2, s12, 0
	v_mul_lo_u32 v21, v4, s20
	v_mul_lo_u32 v22, v5, s21
	v_mad_u64_u32 v[19:20], null, v5, s20, 0
	v_mul_lo_u32 v26, v4, s26
	v_mul_lo_u32 v27, v5, s27
	v_mad_u64_u32 v[3:4], null, v5, s26, 0
	v_mov_b32_e32 v5, v12
	v_mad_u64_u32 v[15:16], null, v2, s16, 0
	v_mad_u64_u32 v[17:18], null, v2, s22, 0
	v_add3_u32 v20, v20, v22, v21
	v_add3_u32 v4, v4, v27, v26
	s_delay_alu instid0(VALU_DEP_4) | instskip(NEXT) | instid1(VALU_DEP_3)
	v_mov_b32_e32 v12, v16
	v_lshlrev_b64 v[19:20], 2, v[19:20]
	s_waitcnt vmcnt(0)
	v_mad_u64_u32 v[21:22], null, v2, s7, v[5:6]
	v_mov_b32_e32 v7, v14
	v_mov_b32_e32 v14, v18
	s_delay_alu instid0(VALU_DEP_2) | instskip(SKIP_2) | instid1(VALU_DEP_4)
	v_mad_u64_u32 v[22:23], null, v2, s13, v[7:8]
	v_mad_u64_u32 v[23:24], null, v2, s17, v[12:13]
	v_mov_b32_e32 v12, v21
	v_mad_u64_u32 v[24:25], null, v2, s23, v[14:15]
	v_lshlrev_b64 v[2:3], 2, v[3:4]
	v_mov_b32_e32 v14, v22
	s_delay_alu instid0(VALU_DEP_4)
	v_lshlrev_b64 v[4:5], 2, v[11:12]
	v_mov_b32_e32 v16, v23
	v_mul_lo_u32 v7, v10, s14
	v_mul_lo_u32 v23, v9, s15
	v_lshlrev_b64 v[13:14], 2, v[13:14]
	v_mov_b32_e32 v18, v24
	v_lshlrev_b64 v[11:12], 2, v[15:16]
	v_mul_lo_u32 v10, v10, s8
	v_mul_lo_u32 v24, v9, s9
	s_delay_alu instid0(VALU_DEP_4)
	v_lshlrev_b64 v[15:16], 2, v[17:18]
	v_add_co_u32 v17, vcc_lo, s2, v13
	v_add_co_ci_u32_e32 v18, vcc_lo, s3, v14, vcc_lo
	v_add_co_u32 v21, vcc_lo, s36, v4
	v_add_co_ci_u32_e32 v22, vcc_lo, s37, v5, vcc_lo
	v_mad_u64_u32 v[4:5], null, v9, s14, 0
	v_mad_u64_u32 v[13:14], null, v9, s8, 0
	v_add_co_u32 v9, vcc_lo, s42, v11
	v_add_co_ci_u32_e32 v11, vcc_lo, s43, v12, vcc_lo
	s_delay_alu instid0(VALU_DEP_4) | instskip(SKIP_3) | instid1(VALU_DEP_4)
	v_add3_u32 v5, v5, v23, v7
	v_add_co_u32 v15, vcc_lo, s0, v15
	v_add3_u32 v14, v14, v24, v10
	v_add_co_ci_u32_e32 v16, vcc_lo, s1, v16, vcc_lo
	v_lshlrev_b64 v[4:5], 2, v[4:5]
	v_add_co_u32 v7, vcc_lo, v9, v19
	s_delay_alu instid0(VALU_DEP_4) | instskip(SKIP_1) | instid1(VALU_DEP_4)
	v_lshlrev_b64 v[12:13], 2, v[13:14]
	v_add_co_ci_u32_e32 v9, vcc_lo, v11, v20, vcc_lo
	v_add_co_u32 v10, vcc_lo, v17, v4
	v_add_co_ci_u32_e32 v11, vcc_lo, v18, v5, vcc_lo
	s_delay_alu instid0(VALU_DEP_4)
	v_add_co_u32 v12, vcc_lo, v21, v12
	v_add_co_ci_u32_e32 v13, vcc_lo, v22, v13, vcc_lo
	v_add_co_u32 v14, vcc_lo, v15, v2
	v_add_co_ci_u32_e32 v15, vcc_lo, v16, v3, vcc_lo
	s_mov_b32 s0, 0
.LBB12_4:                               ; =>This Loop Header: Depth=1
                                        ;     Child Loop BB12_5 Depth 2
	s_mul_i32 s1, s28, s11
	s_mul_hi_u32 s2, s28, s10
	s_mul_i32 s3, s28, s19
	s_mul_hi_u32 s6, s28, s18
	s_add_i32 s1, s2, s1
	s_add_i32 s2, s6, s3
	s_mul_i32 s3, s29, s18
	s_mul_i32 s6, s28, s25
	s_add_i32 s3, s2, s3
	s_mul_hi_u32 s7, s28, s24
	s_mul_i32 s2, s28, s18
	s_add_i32 s6, s7, s6
	s_mul_i32 s7, s29, s24
	s_lshl_b64 s[2:3], s[2:3], 2
	s_add_i32 s7, s6, s7
	s_mul_i32 s6, s28, s24
	v_add_co_u32 v2, vcc_lo, v7, s2
	v_add_co_ci_u32_e32 v3, vcc_lo, s3, v9, vcc_lo
	s_lshl_b64 s[2:3], s[6:7], 2
	s_mul_i32 s8, s29, s10
	v_add_co_u32 v4, vcc_lo, v14, s2
	v_add_co_ci_u32_e32 v5, vcc_lo, s3, v15, vcc_lo
	s_add_i32 s3, s1, s8
	s_mul_i32 s2, s28, s10
	global_load_b32 v16, v[2:3], off
	global_load_b32 v4, v[4:5], off
	s_lshl_b64 s[2:3], s[2:3], 2
	s_mul_i32 s1, s28, s5
	v_add_co_u32 v2, vcc_lo, v10, s2
	v_add_co_ci_u32_e32 v3, vcc_lo, s3, v11, vcc_lo
	s_mul_hi_u32 s2, s28, s4
	s_mul_i32 s3, s29, s4
	s_add_i32 s1, s2, s1
	global_load_b32 v17, v[2:3], off
	s_mul_i32 s2, s28, s4
	s_add_i32 s3, s1, s3
	s_mov_b32 s1, 0
	s_lshl_b64 s[2:3], s[2:3], 2
	s_delay_alu instid0(SALU_CYCLE_1) | instskip(SKIP_4) | instid1(VALU_DEP_1)
	v_add_co_u32 v2, vcc_lo, v12, s2
	v_add_co_ci_u32_e32 v3, vcc_lo, s3, v13, vcc_lo
	global_load_b32 v5, v[2:3], off
	s_waitcnt vmcnt(2)
	v_add_f32_e32 v4, v16, v4
	v_add_f32_e32 v4, v8, v4
	s_waitcnt vmcnt(1)
	s_delay_alu instid0(VALU_DEP_1) | instskip(NEXT) | instid1(VALU_DEP_1)
	v_sub_f32_e32 v4, v4, v17
	v_mul_f32_e32 v16, 0x3fb8aa3b, v4
	v_cmp_ngt_f32_e32 vcc_lo, 0xc2ce8ed0, v4
	s_delay_alu instid0(VALU_DEP_2) | instskip(SKIP_1) | instid1(VALU_DEP_1)
	v_fma_f32 v17, 0x3fb8aa3b, v4, -v16
	v_rndne_f32_e32 v18, v16
	v_dual_fmac_f32 v17, 0x32a5705f, v4 :: v_dual_sub_f32 v16, v16, v18
	s_delay_alu instid0(VALU_DEP_1) | instskip(SKIP_1) | instid1(VALU_DEP_2)
	v_add_f32_e32 v16, v16, v17
	v_cvt_i32_f32_e32 v17, v18
	v_exp_f32_e32 v16, v16
	s_waitcnt_depctr 0xfff
	v_ldexp_f32 v16, v16, v17
	s_delay_alu instid0(VALU_DEP_1) | instskip(SKIP_1) | instid1(VALU_DEP_2)
	v_cndmask_b32_e32 v16, 0, v16, vcc_lo
	v_cmp_nlt_f32_e32 vcc_lo, 0x42b17218, v4
	v_cndmask_b32_e32 v4, 0x7f800000, v16, vcc_lo
	s_delay_alu instid0(VALU_DEP_1)
	v_mul_f32_e64 v16, v6, -v4
.LBB12_5:                               ;   Parent Loop BB12_4 Depth=1
                                        ; =>  This Inner Loop Header: Depth=2
	s_waitcnt vmcnt(0)
	s_delay_alu instid0(VALU_DEP_1)
	v_add_f32_e32 v4, v5, v16
	global_atomic_cmpswap_b32 v4, v[2:3], v[4:5], off glc
	s_waitcnt vmcnt(0)
	v_cmp_eq_u32_e32 vcc_lo, v4, v5
	v_mov_b32_e32 v5, v4
	s_or_b32 s1, vcc_lo, s1
	s_delay_alu instid0(SALU_CYCLE_1)
	s_and_not1_b32 exec_lo, exec_lo, s1
	s_cbranch_execnz .LBB12_5
; %bb.6:                                ;   in Loop: Header=BB12_4 Depth=1
	s_or_b32 exec_lo, exec_lo, s1
	s_add_u32 s28, s28, 1
	s_addc_u32 s29, s29, 0
	s_delay_alu instid0(SALU_CYCLE_1) | instskip(SKIP_1) | instid1(SALU_CYCLE_1)
	v_cmp_eq_u64_e32 vcc_lo, s[28:29], v[0:1]
	s_or_b32 s0, vcc_lo, s0
	s_and_not1_b32 exec_lo, exec_lo, s0
	s_cbranch_execnz .LBB12_4
.LBB12_7:
	s_endpgm
	.section	.rodata,"a",@progbits
	.p2align	6, 0x0
	.amdhsa_kernel _ZN2at6native12_GLOBAL__N_145ctc_loss_backward_collect_nonblank_gpu_kernelIflEEvPT_PKS3_lS6_S6_S6_PKlPKT0_S8_S6_llllllllllllS8_llb
		.amdhsa_group_segment_fixed_size 0
		.amdhsa_private_segment_fixed_size 0
		.amdhsa_kernarg_size 464
		.amdhsa_user_sgpr_count 14
		.amdhsa_user_sgpr_dispatch_ptr 0
		.amdhsa_user_sgpr_queue_ptr 0
		.amdhsa_user_sgpr_kernarg_segment_ptr 1
		.amdhsa_user_sgpr_dispatch_id 0
		.amdhsa_user_sgpr_private_segment_size 0
		.amdhsa_wavefront_size32 1
		.amdhsa_uses_dynamic_stack 0
		.amdhsa_enable_private_segment 0
		.amdhsa_system_sgpr_workgroup_id_x 1
		.amdhsa_system_sgpr_workgroup_id_y 1
		.amdhsa_system_sgpr_workgroup_id_z 0
		.amdhsa_system_sgpr_workgroup_info 0
		.amdhsa_system_vgpr_workitem_id 1
		.amdhsa_next_free_vgpr 28
		.amdhsa_next_free_sgpr 44
		.amdhsa_reserve_vcc 1
		.amdhsa_float_round_mode_32 0
		.amdhsa_float_round_mode_16_64 0
		.amdhsa_float_denorm_mode_32 3
		.amdhsa_float_denorm_mode_16_64 3
		.amdhsa_dx10_clamp 1
		.amdhsa_ieee_mode 1
		.amdhsa_fp16_overflow 0
		.amdhsa_workgroup_processor_mode 1
		.amdhsa_memory_ordered 1
		.amdhsa_forward_progress 0
		.amdhsa_shared_vgpr_count 0
		.amdhsa_exception_fp_ieee_invalid_op 0
		.amdhsa_exception_fp_denorm_src 0
		.amdhsa_exception_fp_ieee_div_zero 0
		.amdhsa_exception_fp_ieee_overflow 0
		.amdhsa_exception_fp_ieee_underflow 0
		.amdhsa_exception_fp_ieee_inexact 0
		.amdhsa_exception_int_div_zero 0
	.end_amdhsa_kernel
	.section	.text._ZN2at6native12_GLOBAL__N_145ctc_loss_backward_collect_nonblank_gpu_kernelIflEEvPT_PKS3_lS6_S6_S6_PKlPKT0_S8_S6_llllllllllllS8_llb,"axG",@progbits,_ZN2at6native12_GLOBAL__N_145ctc_loss_backward_collect_nonblank_gpu_kernelIflEEvPT_PKS3_lS6_S6_S6_PKlPKT0_S8_S6_llllllllllllS8_llb,comdat
.Lfunc_end12:
	.size	_ZN2at6native12_GLOBAL__N_145ctc_loss_backward_collect_nonblank_gpu_kernelIflEEvPT_PKS3_lS6_S6_S6_PKlPKT0_S8_S6_llllllllllllS8_llb, .Lfunc_end12-_ZN2at6native12_GLOBAL__N_145ctc_loss_backward_collect_nonblank_gpu_kernelIflEEvPT_PKS3_lS6_S6_S6_PKlPKT0_S8_S6_llllllllllllS8_llb
                                        ; -- End function
	.section	.AMDGPU.csdata,"",@progbits
; Kernel info:
; codeLenInByte = 1416
; NumSgprs: 46
; NumVgprs: 28
; ScratchSize: 0
; MemoryBound: 0
; FloatMode: 240
; IeeeMode: 1
; LDSByteSize: 0 bytes/workgroup (compile time only)
; SGPRBlocks: 5
; VGPRBlocks: 3
; NumSGPRsForWavesPerEU: 46
; NumVGPRsForWavesPerEU: 28
; Occupancy: 16
; WaveLimiterHint : 1
; COMPUTE_PGM_RSRC2:SCRATCH_EN: 0
; COMPUTE_PGM_RSRC2:USER_SGPR: 14
; COMPUTE_PGM_RSRC2:TRAP_HANDLER: 0
; COMPUTE_PGM_RSRC2:TGID_X_EN: 1
; COMPUTE_PGM_RSRC2:TGID_Y_EN: 1
; COMPUTE_PGM_RSRC2:TGID_Z_EN: 0
; COMPUTE_PGM_RSRC2:TIDIG_COMP_CNT: 1
	.section	.text._ZN2at6native12_GLOBAL__N_136ctc_loss_backward_collect_gpu_kernelIflEEvPT_PKS3_lS6_S6_S6_PKllPKT0_S8_lS6_llllllllllllS8_llllb,"axG",@progbits,_ZN2at6native12_GLOBAL__N_136ctc_loss_backward_collect_gpu_kernelIflEEvPT_PKS3_lS6_S6_S6_PKllPKT0_S8_lS6_llllllllllllS8_llllb,comdat
	.globl	_ZN2at6native12_GLOBAL__N_136ctc_loss_backward_collect_gpu_kernelIflEEvPT_PKS3_lS6_S6_S6_PKllPKT0_S8_lS6_llllllllllllS8_llllb ; -- Begin function _ZN2at6native12_GLOBAL__N_136ctc_loss_backward_collect_gpu_kernelIflEEvPT_PKS3_lS6_S6_S6_PKllPKT0_S8_lS6_llllllllllllS8_llllb
	.p2align	8
	.type	_ZN2at6native12_GLOBAL__N_136ctc_loss_backward_collect_gpu_kernelIflEEvPT_PKS3_lS6_S6_S6_PKllPKT0_S8_lS6_llllllllllllS8_llllb,@function
_ZN2at6native12_GLOBAL__N_136ctc_loss_backward_collect_gpu_kernelIflEEvPT_PKS3_lS6_S6_S6_PKllPKT0_S8_lS6_llllllllllllS8_llllb: ; @_ZN2at6native12_GLOBAL__N_136ctc_loss_backward_collect_gpu_kernelIflEEvPT_PKS3_lS6_S6_S6_PKllPKT0_S8_lS6_llllllllllllS8_llllb
; %bb.0:
	s_load_b32 s4, s[0:1], 0xfc
	v_bfe_u32 v1, v0, 10, 10
	s_clause 0x1
	s_load_b64 s[2:3], s[0:1], 0x38
	s_load_b256 s[20:27], s[0:1], 0xc8
	v_and_b32_e32 v4, 0x3ff, v0
	s_waitcnt lgkmcnt(0)
	s_lshr_b32 s5, s4, 16
	s_and_b32 s4, s4, 0xffff
	v_mad_u64_u32 v[2:3], null, s15, s5, v[1:2]
	v_mov_b32_e32 v3, 0
	s_delay_alu instid0(VALU_DEP_1) | instskip(NEXT) | instid1(VALU_DEP_1)
	v_mov_b32_e32 v5, v3
	v_mad_u64_u32 v[0:1], null, s4, s14, v[4:5]
	s_delay_alu instid0(VALU_DEP_1) | instskip(SKIP_1) | instid1(VALU_DEP_1)
	v_cmp_gt_i64_e32 vcc_lo, s[2:3], v[0:1]
	v_cmp_gt_i64_e64 s2, s[22:23], v[2:3]
	s_and_b32 s2, vcc_lo, s2
	s_delay_alu instid0(SALU_CYCLE_1)
	s_and_saveexec_b32 s3, s2
	s_cbranch_execz .LBB13_15
; %bb.1:
	s_clause 0x1
	s_load_b64 s[4:5], s[0:1], 0x30
	s_load_b64 s[2:3], s[0:1], 0x50
	v_lshlrev_b64 v[8:9], 3, v[2:3]
	s_load_b64 s[22:23], s[0:1], 0x0
	s_waitcnt lgkmcnt(0)
	s_delay_alu instid0(VALU_DEP_1) | instskip(NEXT) | instid1(VALU_DEP_2)
	v_add_co_u32 v4, vcc_lo, s4, v8
	v_add_co_ci_u32_e32 v5, vcc_lo, s5, v9, vcc_lo
	s_load_b512 s[4:19], s[0:1], 0x60
	global_load_b64 v[4:5], v[4:5], off
	s_waitcnt lgkmcnt(0)
	v_mad_u64_u32 v[6:7], null, v2, s6, 0
	v_cmp_lt_i64_e64 s6, s[2:3], 0
	v_mul_lo_u32 v16, v1, s4
	v_mul_lo_u32 v17, v0, s5
	s_delay_alu instid0(VALU_DEP_3) | instskip(NEXT) | instid1(VALU_DEP_4)
	s_and_b32 vcc_lo, exec_lo, s6
	v_mad_u64_u32 v[10:11], null, v2, s7, v[7:8]
	s_mov_b64 s[6:7], 0
	s_delay_alu instid0(VALU_DEP_1) | instskip(NEXT) | instid1(VALU_DEP_1)
	v_mov_b32_e32 v7, v10
	v_lshlrev_b64 v[6:7], 2, v[6:7]
	s_cbranch_vccnz .LBB13_10
; %bb.2:
	s_clause 0x3
	s_load_b64 s[34:35], s[0:1], 0xc0
	s_load_b128 s[28:31], s[0:1], 0x40
	s_load_b128 s[44:47], s[0:1], 0x18
	s_load_b256 s[36:43], s[0:1], 0xa0
	v_mul_lo_u32 v24, v1, s18
	v_mul_lo_u32 v25, v0, s19
	v_mad_u64_u32 v[14:15], null, v0, s18, 0
	v_mad_u64_u32 v[18:19], null, v0, s4, 0
	s_lshl_b64 s[18:19], s[2:3], 1
	s_mov_b32 s3, 0
	s_delay_alu instid0(VALU_DEP_2) | instskip(NEXT) | instid1(VALU_DEP_2)
	v_add3_u32 v15, v15, v25, v24
	v_add3_u32 v19, v19, v17, v16
	s_delay_alu instid0(VALU_DEP_2)
	v_lshlrev_b64 v[14:15], 2, v[14:15]
	s_waitcnt lgkmcnt(0)
	v_add_co_u32 v10, vcc_lo, s34, v8
	v_add_co_ci_u32_e32 v11, vcc_lo, s35, v9, vcc_lo
	v_add_co_u32 v8, vcc_lo, s30, v8
	v_add_co_ci_u32_e32 v9, vcc_lo, s31, v9, vcc_lo
	v_mad_u64_u32 v[20:21], null, v2, s38, 0
	global_load_b64 v[10:11], v[10:11], off
	global_load_b64 v[12:13], v[8:9], off
	v_mad_u64_u32 v[8:9], null, v2, s16, 0
	v_mul_lo_u32 v28, v1, s40
	v_mul_lo_u32 v29, v0, s41
	s_waitcnt vmcnt(1)
	s_delay_alu instid0(VALU_DEP_3) | instskip(SKIP_4) | instid1(VALU_DEP_3)
	v_mad_u64_u32 v[22:23], null, v2, s17, v[9:10]
	v_mad_u64_u32 v[23:24], null, v0, s40, 0
	s_waitcnt vmcnt(0)
	v_lshlrev_b64 v[12:13], 1, v[12:13]
	s_lshl_b64 s[16:17], s[36:37], 2
	v_mov_b32_e32 v9, v22
	v_mad_u64_u32 v[25:26], null, v2, s39, v[21:22]
	v_add_co_u32 v22, vcc_lo, s22, v6
	s_delay_alu instid0(VALU_DEP_3)
	v_lshlrev_b64 v[8:9], 2, v[8:9]
	v_add_co_ci_u32_e32 v30, vcc_lo, s23, v7, vcc_lo
	v_add3_u32 v24, v24, v29, v28
	v_mov_b32_e32 v21, v25
	v_lshlrev_b64 v[26:27], 2, v[18:19]
	v_add_co_u32 v8, vcc_lo, s44, v8
	v_add_co_ci_u32_e32 v9, vcc_lo, s45, v9, vcc_lo
	s_delay_alu instid0(VALU_DEP_4) | instskip(NEXT) | instid1(VALU_DEP_3)
	v_lshlrev_b64 v[20:21], 2, v[20:21]
	v_add_co_u32 v8, vcc_lo, v8, v14
	v_lshlrev_b64 v[18:19], 2, v[23:24]
	s_delay_alu instid0(VALU_DEP_4) | instskip(NEXT) | instid1(VALU_DEP_4)
	v_add_co_ci_u32_e32 v9, vcc_lo, v9, v15, vcc_lo
	v_add_co_u32 v20, vcc_lo, s46, v20
	v_add_co_ci_u32_e32 v21, vcc_lo, s47, v21, vcc_lo
	v_lshlrev_b64 v[14:15], 3, v[10:11]
	s_delay_alu instid0(VALU_DEP_3) | instskip(NEXT) | instid1(VALU_DEP_3)
	v_add_co_u32 v10, vcc_lo, v20, v18
	v_add_co_ci_u32_e32 v11, vcc_lo, v21, v19, vcc_lo
	s_delay_alu instid0(VALU_DEP_3) | instskip(NEXT) | instid1(VALU_DEP_4)
	v_add_co_u32 v18, vcc_lo, s28, v14
	v_add_co_ci_u32_e32 v19, vcc_lo, s29, v15, vcc_lo
	v_add_co_u32 v20, vcc_lo, v22, v26
	v_add_co_ci_u32_e32 v21, vcc_lo, v30, v27, vcc_lo
	s_lshl_b64 s[28:29], s[42:43], 2
	s_branch .LBB13_5
.LBB13_3:                               ;   in Loop: Header=BB13_5 Depth=1
	s_or_b32 exec_lo, exec_lo, s30
	global_store_b32 v[14:15], v22, off
.LBB13_4:                               ;   in Loop: Header=BB13_5 Depth=1
	s_or_b32 exec_lo, exec_lo, s5
	s_add_u32 s6, s6, 1
	s_addc_u32 s7, s7, 0
	v_add_co_u32 v8, vcc_lo, v8, s16
	v_cmp_lt_i64_e64 s2, s[18:19], s[6:7]
	v_add_co_ci_u32_e32 v9, vcc_lo, s17, v9, vcc_lo
	v_add_co_u32 v10, vcc_lo, v10, s28
	v_add_co_ci_u32_e32 v11, vcc_lo, s29, v11, vcc_lo
	s_delay_alu instid0(VALU_DEP_4)
	s_and_b32 vcc_lo, exec_lo, s2
	s_cbranch_vccnz .LBB13_10
.LBB13_5:                               ; =>This Inner Loop Header: Depth=1
	s_mov_b32 s5, exec_lo
	v_cmpx_le_i64_e64 s[6:7], v[12:13]
	s_cbranch_execz .LBB13_4
; %bb.6:                                ;   in Loop: Header=BB13_5 Depth=1
	v_dual_mov_b32 v14, s26 :: v_dual_mov_b32 v15, s27
	s_and_b32 s2, s6, 1
	s_delay_alu instid0(SALU_CYCLE_1)
	s_cmp_eq_u64 s[2:3], 0
	s_cbranch_scc1 .LBB13_8
; %bb.7:                                ;   in Loop: Header=BB13_5 Depth=1
	v_alignbit_b32 v14, s7, s6, 1
	s_lshr_b32 s2, s7, 1
	s_delay_alu instid0(SALU_CYCLE_1) | instskip(NEXT) | instid1(VALU_DEP_1)
	s_mul_i32 s2, s2, s20
	v_mul_lo_u32 v15, v14, s21
	v_mul_hi_u32 v22, v14, s20
	v_mul_lo_u32 v14, v14, s20
	s_delay_alu instid0(VALU_DEP_2) | instskip(NEXT) | instid1(VALU_DEP_1)
	v_add_nc_u32_e32 v15, v22, v15
	v_add_nc_u32_e32 v15, s2, v15
	s_delay_alu instid0(VALU_DEP_1) | instskip(NEXT) | instid1(VALU_DEP_1)
	v_lshlrev_b64 v[14:15], 3, v[14:15]
	v_add_co_u32 v14, vcc_lo, v18, v14
	s_delay_alu instid0(VALU_DEP_2)
	v_add_co_ci_u32_e32 v15, vcc_lo, v19, v15, vcc_lo
	global_load_b64 v[14:15], v[14:15], off
.LBB13_8:                               ;   in Loop: Header=BB13_5 Depth=1
	s_waitcnt vmcnt(0)
	v_mul_lo_u32 v15, v15, s8
	v_mul_lo_u32 v24, v14, s9
	v_mad_u64_u32 v[22:23], null, v14, s8, 0
	s_mov_b32 s30, exec_lo
	s_delay_alu instid0(VALU_DEP_1) | instskip(NEXT) | instid1(VALU_DEP_1)
	v_add3_u32 v23, v23, v24, v15
	v_lshlrev_b64 v[14:15], 2, v[22:23]
	s_delay_alu instid0(VALU_DEP_1) | instskip(NEXT) | instid1(VALU_DEP_2)
	v_add_co_u32 v14, vcc_lo, v20, v14
	v_add_co_ci_u32_e32 v15, vcc_lo, v21, v15, vcc_lo
	global_load_b32 v22, v[8:9], off
	global_load_b32 v24, v[10:11], off
	;; [unrolled: 1-line block ×3, first 2 shown]
	s_waitcnt vmcnt(1)
	v_add_f32_e32 v22, v22, v24
	s_waitcnt vmcnt(0)
	v_cmpx_neq_f32_e32 0xff800000, v23
	s_cbranch_execz .LBB13_3
; %bb.9:                                ;   in Loop: Header=BB13_5 Depth=1
	s_delay_alu instid0(VALU_DEP_2) | instskip(SKIP_1) | instid1(VALU_DEP_1)
	v_cmp_gt_f32_e32 vcc_lo, v23, v22
	v_cndmask_b32_e32 v24, v22, v23, vcc_lo
	v_sub_f32_e32 v23, v23, v24
	s_delay_alu instid0(VALU_DEP_1) | instskip(NEXT) | instid1(VALU_DEP_1)
	v_mul_f32_e32 v25, 0x3fb8aa3b, v23
	v_rndne_f32_e32 v28, v25
	v_fma_f32 v27, 0x3fb8aa3b, v23, -v25
	s_delay_alu instid0(VALU_DEP_2) | instskip(SKIP_1) | instid1(VALU_DEP_1)
	v_sub_f32_e32 v25, v25, v28
	v_sub_f32_e32 v22, v22, v24
	v_mul_f32_e32 v26, 0x3fb8aa3b, v22
	s_delay_alu instid0(VALU_DEP_4) | instskip(SKIP_1) | instid1(VALU_DEP_3)
	v_fmac_f32_e32 v27, 0x32a5705f, v23
	v_cmp_ngt_f32_e32 vcc_lo, 0xc2ce8ed0, v23
	v_fma_f32 v29, 0x3fb8aa3b, v22, -v26
	v_rndne_f32_e32 v30, v26
	s_delay_alu instid0(VALU_DEP_2) | instskip(NEXT) | instid1(VALU_DEP_2)
	v_fmac_f32_e32 v29, 0x32a5705f, v22
	v_dual_sub_f32 v26, v26, v30 :: v_dual_add_f32 v25, v25, v27
	v_cvt_i32_f32_e32 v27, v28
	v_cvt_i32_f32_e32 v28, v30
	s_delay_alu instid0(VALU_DEP_3) | instskip(NEXT) | instid1(VALU_DEP_4)
	v_add_f32_e32 v26, v26, v29
	v_exp_f32_e32 v25, v25
	s_delay_alu instid0(VALU_DEP_1) | instskip(SKIP_3) | instid1(VALU_DEP_2)
	v_exp_f32_e32 v26, v26
	s_waitcnt_depctr 0xfff
	v_ldexp_f32 v25, v25, v27
	v_ldexp_f32 v26, v26, v28
	v_cndmask_b32_e32 v25, 0, v25, vcc_lo
	v_cmp_ngt_f32_e32 vcc_lo, 0xc2ce8ed0, v22
	s_delay_alu instid0(VALU_DEP_3) | instskip(SKIP_1) | instid1(VALU_DEP_4)
	v_cndmask_b32_e32 v26, 0, v26, vcc_lo
	v_cmp_nlt_f32_e32 vcc_lo, 0x42b17218, v23
	v_cndmask_b32_e32 v23, 0x7f800000, v25, vcc_lo
	v_cmp_nlt_f32_e32 vcc_lo, 0x42b17218, v22
	s_delay_alu instid0(VALU_DEP_4) | instskip(NEXT) | instid1(VALU_DEP_1)
	v_cndmask_b32_e32 v22, 0x7f800000, v26, vcc_lo
	v_add_f32_e32 v22, v23, v22
	s_delay_alu instid0(VALU_DEP_1) | instskip(SKIP_1) | instid1(VALU_DEP_1)
	v_cmp_gt_f32_e32 vcc_lo, 0x800000, v22
	v_cndmask_b32_e64 v23, 1.0, 0x4f800000, vcc_lo
	v_mul_f32_e32 v22, v22, v23
	s_delay_alu instid0(VALU_DEP_1) | instskip(SKIP_3) | instid1(VALU_DEP_2)
	v_log_f32_e32 v22, v22
	s_waitcnt_depctr 0xfff
	v_mul_f32_e32 v23, 0x3f317217, v22
	v_cmp_gt_f32_e64 s2, 0x7f800000, |v22|
	v_fma_f32 v25, 0x3f317217, v22, -v23
	s_delay_alu instid0(VALU_DEP_1) | instskip(NEXT) | instid1(VALU_DEP_1)
	v_fmac_f32_e32 v25, 0x3377d1cf, v22
	v_add_f32_e32 v23, v23, v25
	s_delay_alu instid0(VALU_DEP_1) | instskip(SKIP_1) | instid1(VALU_DEP_1)
	v_cndmask_b32_e64 v22, v22, v23, s2
	v_cndmask_b32_e64 v23, 0, 0x41b17218, vcc_lo
	v_sub_f32_e32 v22, v22, v23
	s_delay_alu instid0(VALU_DEP_1)
	v_add_f32_e32 v22, v24, v22
	s_branch .LBB13_3
.LBB13_10:
	v_cmp_lt_i64_e64 s2, s[24:25], 1
	s_delay_alu instid0(VALU_DEP_1)
	s_and_b32 vcc_lo, exec_lo, s2
	s_cbranch_vccnz .LBB13_15
; %bb.11:
	s_clause 0x3
	s_load_b128 s[16:19], s[0:1], 0x8
	s_load_b64 s[2:3], s[0:1], 0x58
	s_load_b64 s[6:7], s[0:1], 0x28
	s_load_b32 s0, s[0:1], 0xe8
	v_mul_lo_u32 v18, v0, s11
	s_waitcnt lgkmcnt(0)
	v_mad_u64_u32 v[9:10], null, v2, s18, 0
	s_bitcmp1_b32 s0, 0
	s_cselect_b32 s0, -1, 0
	s_delay_alu instid0(VALU_DEP_1) | instskip(SKIP_1) | instid1(VALU_DEP_2)
	v_mov_b32_e32 v8, v10
	v_lshlrev_b64 v[10:11], 2, v[2:3]
	v_mad_u64_u32 v[12:13], null, v2, s19, v[8:9]
	s_delay_alu instid0(VALU_DEP_2) | instskip(NEXT) | instid1(VALU_DEP_3)
	v_add_co_u32 v13, vcc_lo, s2, v10
	v_add_co_ci_u32_e32 v14, vcc_lo, s3, v11, vcc_lo
	s_xor_b32 s2, s0, -1
	s_delay_alu instid0(VALU_DEP_3) | instskip(SKIP_3) | instid1(VALU_DEP_2)
	v_mov_b32_e32 v10, v12
	global_load_b32 v8, v[13:14], off
	v_mad_u64_u32 v[12:13], null, v0, s4, 0
	v_lshlrev_b64 v[9:10], 2, v[9:10]
	v_add3_u32 v13, v13, v17, v16
	s_delay_alu instid0(VALU_DEP_2) | instskip(NEXT) | instid1(VALU_DEP_3)
	v_add_co_u32 v9, vcc_lo, s16, v9
	v_add_co_ci_u32_e32 v10, vcc_lo, s17, v10, vcc_lo
	v_mul_lo_u32 v17, v1, s10
	global_load_b32 v9, v[9:10], off
	v_mad_u64_u32 v[10:11], null, v2, s12, 0
	s_delay_alu instid0(VALU_DEP_1) | instskip(SKIP_1) | instid1(VALU_DEP_1)
	v_mov_b32_e32 v3, v11
	s_waitcnt vmcnt(2)
	v_mad_u64_u32 v[14:15], null, v2, s13, v[3:4]
	v_mad_u64_u32 v[15:16], null, v0, s10, 0
	v_lshlrev_b64 v[2:3], 2, v[12:13]
	v_add_co_u32 v12, vcc_lo, s22, v6
	v_add_co_ci_u32_e32 v13, vcc_lo, s23, v7, vcc_lo
	v_mov_b32_e32 v11, v14
	v_add3_u32 v16, v16, v18, v17
	s_delay_alu instid0(VALU_DEP_4) | instskip(NEXT) | instid1(VALU_DEP_4)
	v_add_co_u32 v2, vcc_lo, v12, v2
	v_add_co_ci_u32_e32 v3, vcc_lo, v13, v3, vcc_lo
	s_delay_alu instid0(VALU_DEP_4) | instskip(SKIP_2) | instid1(VALU_DEP_3)
	v_lshlrev_b64 v[6:7], 2, v[10:11]
	v_cmp_lt_i64_e32 vcc_lo, v[0:1], v[4:5]
	v_lshlrev_b64 v[0:1], 2, v[15:16]
	v_add_co_u32 v4, s1, s6, v6
	s_delay_alu instid0(VALU_DEP_1) | instskip(SKIP_2) | instid1(VALU_DEP_1)
	v_add_co_ci_u32_e64 v5, s1, s7, v7, s1
	s_waitcnt vmcnt(1)
	v_cmp_neq_f32_e64 s0, 0x7f800000, v8
	s_or_b32 s1, s2, s0
	v_add_co_u32 v0, s0, v4, v0
	s_delay_alu instid0(VALU_DEP_1)
	v_add_co_ci_u32_e64 v1, s0, v5, v1, s0
	s_and_b32 s4, vcc_lo, s1
	s_lshl_b64 s[0:1], s[14:15], 2
	s_lshl_b64 s[2:3], s[8:9], 2
	s_branch .LBB13_13
.LBB13_12:                              ;   in Loop: Header=BB13_13 Depth=1
	s_or_b32 exec_lo, exec_lo, s5
	v_add_co_u32 v0, vcc_lo, v0, s0
	v_add_co_ci_u32_e32 v1, vcc_lo, s1, v1, vcc_lo
	global_store_b32 v[2:3], v4, off
	v_add_co_u32 v2, vcc_lo, v2, s2
	s_add_u32 s24, s24, -1
	v_add_co_ci_u32_e32 v3, vcc_lo, s3, v3, vcc_lo
	s_addc_u32 s25, s25, -1
	s_delay_alu instid0(SALU_CYCLE_1)
	s_cmp_lg_u64 s[24:25], 0
	s_cbranch_scc0 .LBB13_15
.LBB13_13:                              ; =>This Inner Loop Header: Depth=1
	v_mov_b32_e32 v4, 0
	s_and_saveexec_b32 s5, s4
	s_cbranch_execz .LBB13_12
; %bb.14:                               ;   in Loop: Header=BB13_13 Depth=1
	global_load_b32 v4, v[2:3], off
	global_load_b32 v5, v[0:1], off
	s_waitcnt vmcnt(0)
	v_mul_f32_e32 v6, 0x3fb8aa3b, v5
	v_cmp_ngt_f32_e32 vcc_lo, 0xc2ce8ed0, v5
	s_delay_alu instid0(VALU_DEP_2) | instskip(NEXT) | instid1(VALU_DEP_1)
	v_fma_f32 v11, 0x3fb8aa3b, v5, -v6
	v_dual_add_f32 v4, v8, v4 :: v_dual_fmac_f32 v11, 0x32a5705f, v5
	s_delay_alu instid0(VALU_DEP_1) | instskip(NEXT) | instid1(VALU_DEP_1)
	v_sub_f32_e32 v4, v4, v5
	v_mul_f32_e32 v7, 0x3fb8aa3b, v4
	v_rndne_f32_e32 v10, v6
	s_delay_alu instid0(VALU_DEP_2) | instskip(SKIP_1) | instid1(VALU_DEP_3)
	v_fma_f32 v12, 0x3fb8aa3b, v4, -v7
	v_rndne_f32_e32 v13, v7
	v_sub_f32_e32 v6, v6, v10
	v_cvt_i32_f32_e32 v10, v10
	s_delay_alu instid0(VALU_DEP_3) | instskip(NEXT) | instid1(VALU_DEP_3)
	v_dual_fmac_f32 v12, 0x32a5705f, v4 :: v_dual_sub_f32 v7, v7, v13
	v_add_f32_e32 v6, v6, v11
	v_cvt_i32_f32_e32 v11, v13
	s_delay_alu instid0(VALU_DEP_3) | instskip(NEXT) | instid1(VALU_DEP_3)
	v_add_f32_e32 v7, v7, v12
	v_exp_f32_e32 v6, v6
	s_delay_alu instid0(VALU_DEP_1) | instskip(SKIP_3) | instid1(VALU_DEP_2)
	v_exp_f32_e32 v7, v7
	s_waitcnt_depctr 0xfff
	v_ldexp_f32 v6, v6, v10
	v_ldexp_f32 v7, v7, v11
	v_cndmask_b32_e32 v6, 0, v6, vcc_lo
	v_cmp_ngt_f32_e32 vcc_lo, 0xc2ce8ed0, v4
	s_delay_alu instid0(VALU_DEP_3) | instskip(SKIP_1) | instid1(VALU_DEP_4)
	v_cndmask_b32_e32 v7, 0, v7, vcc_lo
	v_cmp_nlt_f32_e32 vcc_lo, 0x42b17218, v5
	v_cndmask_b32_e32 v5, 0x7f800000, v6, vcc_lo
	v_cmp_nlt_f32_e32 vcc_lo, 0x42b17218, v4
	s_delay_alu instid0(VALU_DEP_4) | instskip(NEXT) | instid1(VALU_DEP_1)
	v_cndmask_b32_e32 v4, 0x7f800000, v7, vcc_lo
	v_sub_f32_e32 v4, v5, v4
	s_delay_alu instid0(VALU_DEP_1)
	v_mul_f32_e32 v4, v9, v4
	s_branch .LBB13_12
.LBB13_15:
	s_nop 0
	s_sendmsg sendmsg(MSG_DEALLOC_VGPRS)
	s_endpgm
	.section	.rodata,"a",@progbits
	.p2align	6, 0x0
	.amdhsa_kernel _ZN2at6native12_GLOBAL__N_136ctc_loss_backward_collect_gpu_kernelIflEEvPT_PKS3_lS6_S6_S6_PKllPKT0_S8_lS6_llllllllllllS8_llllb
		.amdhsa_group_segment_fixed_size 0
		.amdhsa_private_segment_fixed_size 0
		.amdhsa_kernarg_size 496
		.amdhsa_user_sgpr_count 14
		.amdhsa_user_sgpr_dispatch_ptr 0
		.amdhsa_user_sgpr_queue_ptr 0
		.amdhsa_user_sgpr_kernarg_segment_ptr 1
		.amdhsa_user_sgpr_dispatch_id 0
		.amdhsa_user_sgpr_private_segment_size 0
		.amdhsa_wavefront_size32 1
		.amdhsa_uses_dynamic_stack 0
		.amdhsa_enable_private_segment 0
		.amdhsa_system_sgpr_workgroup_id_x 1
		.amdhsa_system_sgpr_workgroup_id_y 1
		.amdhsa_system_sgpr_workgroup_id_z 0
		.amdhsa_system_sgpr_workgroup_info 0
		.amdhsa_system_vgpr_workitem_id 1
		.amdhsa_next_free_vgpr 31
		.amdhsa_next_free_sgpr 48
		.amdhsa_reserve_vcc 1
		.amdhsa_float_round_mode_32 0
		.amdhsa_float_round_mode_16_64 0
		.amdhsa_float_denorm_mode_32 3
		.amdhsa_float_denorm_mode_16_64 3
		.amdhsa_dx10_clamp 1
		.amdhsa_ieee_mode 1
		.amdhsa_fp16_overflow 0
		.amdhsa_workgroup_processor_mode 1
		.amdhsa_memory_ordered 1
		.amdhsa_forward_progress 0
		.amdhsa_shared_vgpr_count 0
		.amdhsa_exception_fp_ieee_invalid_op 0
		.amdhsa_exception_fp_denorm_src 0
		.amdhsa_exception_fp_ieee_div_zero 0
		.amdhsa_exception_fp_ieee_overflow 0
		.amdhsa_exception_fp_ieee_underflow 0
		.amdhsa_exception_fp_ieee_inexact 0
		.amdhsa_exception_int_div_zero 0
	.end_amdhsa_kernel
	.section	.text._ZN2at6native12_GLOBAL__N_136ctc_loss_backward_collect_gpu_kernelIflEEvPT_PKS3_lS6_S6_S6_PKllPKT0_S8_lS6_llllllllllllS8_llllb,"axG",@progbits,_ZN2at6native12_GLOBAL__N_136ctc_loss_backward_collect_gpu_kernelIflEEvPT_PKS3_lS6_S6_S6_PKllPKT0_S8_lS6_llllllllllllS8_llllb,comdat
.Lfunc_end13:
	.size	_ZN2at6native12_GLOBAL__N_136ctc_loss_backward_collect_gpu_kernelIflEEvPT_PKS3_lS6_S6_S6_PKllPKT0_S8_lS6_llllllllllllS8_llllb, .Lfunc_end13-_ZN2at6native12_GLOBAL__N_136ctc_loss_backward_collect_gpu_kernelIflEEvPT_PKS3_lS6_S6_S6_PKllPKT0_S8_lS6_llllllllllllS8_llllb
                                        ; -- End function
	.section	.AMDGPU.csdata,"",@progbits
; Kernel info:
; codeLenInByte = 2052
; NumSgprs: 50
; NumVgprs: 31
; ScratchSize: 0
; MemoryBound: 0
; FloatMode: 240
; IeeeMode: 1
; LDSByteSize: 0 bytes/workgroup (compile time only)
; SGPRBlocks: 6
; VGPRBlocks: 3
; NumSGPRsForWavesPerEU: 50
; NumVGPRsForWavesPerEU: 31
; Occupancy: 16
; WaveLimiterHint : 1
; COMPUTE_PGM_RSRC2:SCRATCH_EN: 0
; COMPUTE_PGM_RSRC2:USER_SGPR: 14
; COMPUTE_PGM_RSRC2:TRAP_HANDLER: 0
; COMPUTE_PGM_RSRC2:TGID_X_EN: 1
; COMPUTE_PGM_RSRC2:TGID_Y_EN: 1
; COMPUTE_PGM_RSRC2:TGID_Z_EN: 0
; COMPUTE_PGM_RSRC2:TIDIG_COMP_CNT: 1
	.section	.text._ZN2at6native12_GLOBAL__N_130ctc_loss_zero_padded_gradientsIfEEvPT_PKlllllll,"axG",@progbits,_ZN2at6native12_GLOBAL__N_130ctc_loss_zero_padded_gradientsIfEEvPT_PKlllllll,comdat
	.globl	_ZN2at6native12_GLOBAL__N_130ctc_loss_zero_padded_gradientsIfEEvPT_PKlllllll ; -- Begin function _ZN2at6native12_GLOBAL__N_130ctc_loss_zero_padded_gradientsIfEEvPT_PKlllllll
	.p2align	8
	.type	_ZN2at6native12_GLOBAL__N_130ctc_loss_zero_padded_gradientsIfEEvPT_PKlllllll,@function
_ZN2at6native12_GLOBAL__N_130ctc_loss_zero_padded_gradientsIfEEvPT_PKlllllll: ; @_ZN2at6native12_GLOBAL__N_130ctc_loss_zero_padded_gradientsIfEEvPT_PKlllllll
; %bb.0:
	s_load_b32 s2, s[0:1], 0x4c
	v_bfe_u32 v3, v0, 10, 10
	s_clause 0x1
	s_load_b128 s[16:19], s[0:1], 0x30
	s_load_b256 s[4:11], s[0:1], 0x10
	v_and_b32_e32 v5, 0x3ff, v0
	s_waitcnt lgkmcnt(0)
	s_lshr_b32 s3, s2, 16
	s_and_b32 s2, s2, 0xffff
	v_mad_u64_u32 v[1:2], null, s15, s3, v[3:4]
	v_mov_b32_e32 v2, 0
	s_delay_alu instid0(VALU_DEP_1) | instskip(NEXT) | instid1(VALU_DEP_3)
	v_mov_b32_e32 v6, v2
	v_cmp_gt_i64_e32 vcc_lo, s[16:17], v[1:2]
	s_delay_alu instid0(VALU_DEP_2) | instskip(NEXT) | instid1(VALU_DEP_1)
	v_mad_u64_u32 v[3:4], null, s2, s14, v[5:6]
	v_cmp_gt_i64_e64 s2, s[10:11], v[3:4]
	s_delay_alu instid0(VALU_DEP_1) | instskip(NEXT) | instid1(SALU_CYCLE_1)
	s_and_b32 s2, vcc_lo, s2
	s_and_saveexec_b32 s3, s2
	s_cbranch_execz .LBB14_4
; %bb.1:
	s_load_b64 s[2:3], s[0:1], 0x8
	v_lshlrev_b64 v[5:6], 3, v[1:2]
	v_clz_i32_u32_e32 v7, v4
	v_cmp_gt_i64_e64 s10, s[18:19], 0
	s_waitcnt lgkmcnt(0)
	s_delay_alu instid0(VALU_DEP_3) | instskip(NEXT) | instid1(VALU_DEP_4)
	v_add_co_u32 v5, vcc_lo, s2, v5
	v_add_co_ci_u32_e32 v6, vcc_lo, s3, v6, vcc_lo
	s_mov_b64 s[2:3], 0
	global_load_b64 v[5:6], v[5:6], off
	s_waitcnt vmcnt(0)
	v_xor_b32_e32 v0, v5, v6
	v_cls_i32_e32 v2, v6
	s_delay_alu instid0(VALU_DEP_2) | instskip(NEXT) | instid1(VALU_DEP_2)
	v_ashrrev_i32_e32 v0, 31, v0
	v_add_nc_u32_e32 v2, -1, v2
	s_delay_alu instid0(VALU_DEP_2) | instskip(NEXT) | instid1(VALU_DEP_1)
	v_add_nc_u32_e32 v0, 32, v0
	v_min_u32_e32 v0, v2, v0
	v_min_u32_e32 v2, 32, v7
	s_delay_alu instid0(VALU_DEP_2) | instskip(NEXT) | instid1(VALU_DEP_2)
	v_lshlrev_b64 v[5:6], v0, v[5:6]
	v_lshlrev_b64 v[7:8], v2, v[3:4]
	v_sub_nc_u32_e32 v2, 32, v2
	v_sub_nc_u32_e32 v0, 32, v0
	s_delay_alu instid0(VALU_DEP_4) | instskip(NEXT) | instid1(VALU_DEP_4)
	v_min_u32_e32 v5, 1, v5
	v_min_u32_e32 v7, 1, v7
	s_delay_alu instid0(VALU_DEP_2) | instskip(NEXT) | instid1(VALU_DEP_2)
	v_or_b32_e32 v5, v6, v5
	v_or_b32_e32 v6, v8, v7
	s_delay_alu instid0(VALU_DEP_2) | instskip(NEXT) | instid1(VALU_DEP_2)
	v_cvt_f32_i32_e32 v5, v5
	v_cvt_f32_u32_e32 v6, v6
	s_delay_alu instid0(VALU_DEP_2) | instskip(NEXT) | instid1(VALU_DEP_2)
	v_ldexp_f32 v0, v5, v0
	v_ldexp_f32 v2, v6, v2
	s_delay_alu instid0(VALU_DEP_1) | instskip(SKIP_1) | instid1(SALU_CYCLE_1)
	v_cmp_ge_f32_e32 vcc_lo, v2, v0
	s_and_b32 s10, vcc_lo, s10
	s_and_b32 exec_lo, exec_lo, s10
	s_cbranch_execz .LBB14_4
; %bb.2:
	v_mad_u64_u32 v[5:6], null, v1, s6, 0
	s_load_b64 s[0:1], s[0:1], 0x0
	v_mul_lo_u32 v4, v4, s4
	v_mul_lo_u32 v9, v3, s5
	v_mad_u64_u32 v[7:8], null, v3, s4, 0
	s_delay_alu instid0(VALU_DEP_4) | instskip(NEXT) | instid1(VALU_DEP_2)
	v_mov_b32_e32 v0, v6
	v_add3_u32 v8, v8, v9, v4
	s_delay_alu instid0(VALU_DEP_2) | instskip(NEXT) | instid1(VALU_DEP_2)
	v_mad_u64_u32 v[2:3], null, v1, s7, v[0:1]
	v_lshlrev_b64 v[0:1], 2, v[7:8]
	s_delay_alu instid0(VALU_DEP_2) | instskip(SKIP_1) | instid1(VALU_DEP_2)
	v_mov_b32_e32 v6, v2
	s_waitcnt lgkmcnt(0)
	v_add_co_u32 v0, vcc_lo, s0, v0
	s_delay_alu instid0(VALU_DEP_3) | instskip(NEXT) | instid1(VALU_DEP_3)
	v_add_co_ci_u32_e32 v1, vcc_lo, s1, v1, vcc_lo
	v_lshlrev_b64 v[2:3], 2, v[5:6]
	s_lshl_b64 s[0:1], s[8:9], 2
	s_delay_alu instid0(VALU_DEP_1) | instskip(NEXT) | instid1(VALU_DEP_2)
	v_add_co_u32 v0, vcc_lo, v0, v2
	v_add_co_ci_u32_e32 v1, vcc_lo, v1, v3, vcc_lo
	v_mov_b32_e32 v2, 0
.LBB14_3:                               ; =>This Inner Loop Header: Depth=1
	s_add_u32 s2, s2, 1
	s_addc_u32 s3, s3, 0
	global_store_b32 v[0:1], v2, off
	v_cmp_lt_i64_e64 s4, s[2:3], s[18:19]
	v_add_co_u32 v0, vcc_lo, v0, s0
	v_add_co_ci_u32_e32 v1, vcc_lo, s1, v1, vcc_lo
	s_delay_alu instid0(VALU_DEP_3)
	s_and_b32 vcc_lo, exec_lo, s4
	s_cbranch_vccnz .LBB14_3
.LBB14_4:
	s_nop 0
	s_sendmsg sendmsg(MSG_DEALLOC_VGPRS)
	s_endpgm
	.section	.rodata,"a",@progbits
	.p2align	6, 0x0
	.amdhsa_kernel _ZN2at6native12_GLOBAL__N_130ctc_loss_zero_padded_gradientsIfEEvPT_PKlllllll
		.amdhsa_group_segment_fixed_size 0
		.amdhsa_private_segment_fixed_size 0
		.amdhsa_kernarg_size 320
		.amdhsa_user_sgpr_count 14
		.amdhsa_user_sgpr_dispatch_ptr 0
		.amdhsa_user_sgpr_queue_ptr 0
		.amdhsa_user_sgpr_kernarg_segment_ptr 1
		.amdhsa_user_sgpr_dispatch_id 0
		.amdhsa_user_sgpr_private_segment_size 0
		.amdhsa_wavefront_size32 1
		.amdhsa_uses_dynamic_stack 0
		.amdhsa_enable_private_segment 0
		.amdhsa_system_sgpr_workgroup_id_x 1
		.amdhsa_system_sgpr_workgroup_id_y 1
		.amdhsa_system_sgpr_workgroup_id_z 0
		.amdhsa_system_sgpr_workgroup_info 0
		.amdhsa_system_vgpr_workitem_id 1
		.amdhsa_next_free_vgpr 10
		.amdhsa_next_free_sgpr 20
		.amdhsa_reserve_vcc 1
		.amdhsa_float_round_mode_32 0
		.amdhsa_float_round_mode_16_64 0
		.amdhsa_float_denorm_mode_32 3
		.amdhsa_float_denorm_mode_16_64 3
		.amdhsa_dx10_clamp 1
		.amdhsa_ieee_mode 1
		.amdhsa_fp16_overflow 0
		.amdhsa_workgroup_processor_mode 1
		.amdhsa_memory_ordered 1
		.amdhsa_forward_progress 0
		.amdhsa_shared_vgpr_count 0
		.amdhsa_exception_fp_ieee_invalid_op 0
		.amdhsa_exception_fp_denorm_src 0
		.amdhsa_exception_fp_ieee_div_zero 0
		.amdhsa_exception_fp_ieee_overflow 0
		.amdhsa_exception_fp_ieee_underflow 0
		.amdhsa_exception_fp_ieee_inexact 0
		.amdhsa_exception_int_div_zero 0
	.end_amdhsa_kernel
	.section	.text._ZN2at6native12_GLOBAL__N_130ctc_loss_zero_padded_gradientsIfEEvPT_PKlllllll,"axG",@progbits,_ZN2at6native12_GLOBAL__N_130ctc_loss_zero_padded_gradientsIfEEvPT_PKlllllll,comdat
.Lfunc_end14:
	.size	_ZN2at6native12_GLOBAL__N_130ctc_loss_zero_padded_gradientsIfEEvPT_PKlllllll, .Lfunc_end14-_ZN2at6native12_GLOBAL__N_130ctc_loss_zero_padded_gradientsIfEEvPT_PKlllllll
                                        ; -- End function
	.section	.AMDGPU.csdata,"",@progbits
; Kernel info:
; codeLenInByte = 520
; NumSgprs: 22
; NumVgprs: 10
; ScratchSize: 0
; MemoryBound: 0
; FloatMode: 240
; IeeeMode: 1
; LDSByteSize: 0 bytes/workgroup (compile time only)
; SGPRBlocks: 2
; VGPRBlocks: 1
; NumSGPRsForWavesPerEU: 22
; NumVGPRsForWavesPerEU: 10
; Occupancy: 16
; WaveLimiterHint : 0
; COMPUTE_PGM_RSRC2:SCRATCH_EN: 0
; COMPUTE_PGM_RSRC2:USER_SGPR: 14
; COMPUTE_PGM_RSRC2:TRAP_HANDLER: 0
; COMPUTE_PGM_RSRC2:TGID_X_EN: 1
; COMPUTE_PGM_RSRC2:TGID_Y_EN: 1
; COMPUTE_PGM_RSRC2:TGID_Z_EN: 0
; COMPUTE_PGM_RSRC2:TIDIG_COMP_CNT: 1
	.section	.text._ZN2at6native12_GLOBAL__N_137ctc_loss_backward_log_beta_gpu_kernelIfiEEvPT_PKS3_PKllPKT0_S8_lllllllS8_lll,"axG",@progbits,_ZN2at6native12_GLOBAL__N_137ctc_loss_backward_log_beta_gpu_kernelIfiEEvPT_PKS3_PKllPKT0_S8_lllllllS8_lll,comdat
	.globl	_ZN2at6native12_GLOBAL__N_137ctc_loss_backward_log_beta_gpu_kernelIfiEEvPT_PKS3_PKllPKT0_S8_lllllllS8_lll ; -- Begin function _ZN2at6native12_GLOBAL__N_137ctc_loss_backward_log_beta_gpu_kernelIfiEEvPT_PKS3_PKllPKT0_S8_lllllllS8_lll
	.p2align	8
	.type	_ZN2at6native12_GLOBAL__N_137ctc_loss_backward_log_beta_gpu_kernelIfiEEvPT_PKS3_PKllPKT0_S8_lllllllS8_lll,@function
_ZN2at6native12_GLOBAL__N_137ctc_loss_backward_log_beta_gpu_kernelIfiEEvPT_PKS3_PKllPKT0_S8_lllllllS8_lll: ; @_ZN2at6native12_GLOBAL__N_137ctc_loss_backward_log_beta_gpu_kernelIfiEEvPT_PKS3_PKllPKT0_S8_lllllllS8_lll
; %bb.0:
	s_clause 0x1
	s_load_b32 s4, s[0:1], 0x94
	s_load_b128 s[20:23], s[0:1], 0x70
	v_bfe_u32 v1, v0, 10, 10
	s_add_u32 s2, s0, 0x88
	s_addc_u32 s3, s1, 0
	s_waitcnt lgkmcnt(0)
	s_lshr_b32 s4, s4, 16
	s_delay_alu instid0(SALU_CYCLE_1) | instskip(SKIP_2) | instid1(VALU_DEP_1)
	v_mad_u64_u32 v[11:12], null, s15, s4, v[1:2]
	v_mov_b32_e32 v12, 0
	s_mov_b32 s4, exec_lo
	v_cmpx_gt_i64_e64 s[22:23], v[11:12]
	s_cbranch_execz .LBB15_43
; %bb.1:
	s_load_b64 s[4:5], s[0:1], 0x10
	v_lshlrev_b64 v[3:4], 3, v[11:12]
	s_waitcnt lgkmcnt(0)
	s_delay_alu instid0(VALU_DEP_1) | instskip(NEXT) | instid1(VALU_DEP_2)
	v_add_co_u32 v1, vcc_lo, s4, v3
	v_add_co_ci_u32_e32 v2, vcc_lo, s5, v4, vcc_lo
	global_load_b64 v[1:2], v[1:2], off
	s_waitcnt vmcnt(0)
	v_cmp_ne_u64_e32 vcc_lo, 0, v[1:2]
	s_and_b32 exec_lo, exec_lo, vcc_lo
	s_cbranch_execz .LBB15_43
; %bb.2:
	s_clause 0x1
	s_load_b64 s[4:5], s[0:1], 0x28
	s_load_b64 s[6:7], s[0:1], 0x68
	s_waitcnt lgkmcnt(0)
	v_add_co_u32 v5, vcc_lo, s4, v3
	v_add_co_ci_u32_e32 v6, vcc_lo, s5, v4, vcc_lo
	v_add_co_u32 v3, vcc_lo, s6, v3
	v_add_co_ci_u32_e32 v4, vcc_lo, s7, v4, vcc_lo
	global_load_b64 v[13:14], v[5:6], off
	global_load_b64 v[5:6], v[3:4], off
	s_load_b256 s[4:11], s[0:1], 0x30
	s_load_b32 s2, s[2:3], 0xc
	s_waitcnt lgkmcnt(0)
	s_lshl_b64 s[22:23], s[4:5], 1
	s_mov_b32 s4, 0
	s_mov_b32 s5, s23
	s_and_b32 s30, s2, 0xffff
	s_cmp_lg_u64 s[4:5], 0
	s_cbranch_scc0 .LBB15_44
; %bb.3:
	v_cvt_f32_ubyte0_e32 v3, 0
	v_cvt_f32_u32_e32 v4, s30
	s_sub_u32 s5, 0, s30
	s_subb_u32 s12, 0, 0
	s_delay_alu instid0(VALU_DEP_1) | instskip(NEXT) | instid1(VALU_DEP_1)
	v_fmamk_f32 v3, v3, 0x4f800000, v4
	v_rcp_f32_e32 v3, v3
	s_waitcnt_depctr 0xfff
	v_mul_f32_e32 v3, 0x5f7ffffc, v3
	s_delay_alu instid0(VALU_DEP_1) | instskip(NEXT) | instid1(VALU_DEP_1)
	v_mul_f32_e32 v4, 0x2f800000, v3
	v_trunc_f32_e32 v4, v4
	s_delay_alu instid0(VALU_DEP_1) | instskip(SKIP_1) | instid1(VALU_DEP_2)
	v_fmamk_f32 v3, v4, 0xcf800000, v3
	v_cvt_u32_f32_e32 v4, v4
	v_cvt_u32_f32_e32 v3, v3
	s_delay_alu instid0(VALU_DEP_2) | instskip(NEXT) | instid1(VALU_DEP_2)
	v_readfirstlane_b32 s2, v4
	v_readfirstlane_b32 s3, v3
	s_delay_alu instid0(VALU_DEP_2) | instskip(NEXT) | instid1(VALU_DEP_1)
	s_mul_i32 s13, s5, s2
	s_mul_hi_u32 s15, s5, s3
	s_mul_i32 s14, s12, s3
	s_add_i32 s13, s15, s13
	s_mul_i32 s16, s5, s3
	s_add_i32 s13, s13, s14
	s_mul_hi_u32 s15, s3, s16
	s_mul_hi_u32 s17, s2, s16
	s_mul_i32 s14, s2, s16
	s_mul_hi_u32 s16, s3, s13
	s_mul_i32 s3, s3, s13
	s_mul_hi_u32 s18, s2, s13
	s_add_u32 s3, s15, s3
	s_addc_u32 s15, 0, s16
	s_add_u32 s3, s3, s14
	s_mul_i32 s13, s2, s13
	s_addc_u32 s3, s15, s17
	s_addc_u32 s14, s18, 0
	s_add_u32 s3, s3, s13
	s_addc_u32 s13, 0, s14
	v_add_co_u32 v3, s3, v3, s3
	s_delay_alu instid0(VALU_DEP_1) | instskip(SKIP_1) | instid1(VALU_DEP_1)
	s_cmp_lg_u32 s3, 0
	s_addc_u32 s2, s2, s13
	v_readfirstlane_b32 s3, v3
	s_mul_i32 s13, s5, s2
	s_delay_alu instid0(VALU_DEP_1)
	s_mul_hi_u32 s14, s5, s3
	s_mul_i32 s12, s12, s3
	s_add_i32 s13, s14, s13
	s_mul_i32 s5, s5, s3
	s_add_i32 s13, s13, s12
	s_mul_hi_u32 s14, s2, s5
	s_mul_i32 s15, s2, s5
	s_mul_hi_u32 s5, s3, s5
	s_mul_hi_u32 s16, s3, s13
	s_mul_i32 s3, s3, s13
	s_mul_hi_u32 s12, s2, s13
	s_add_u32 s3, s5, s3
	s_addc_u32 s5, 0, s16
	s_add_u32 s3, s3, s15
	s_mul_i32 s13, s2, s13
	s_addc_u32 s3, s5, s14
	s_addc_u32 s5, s12, 0
	s_add_u32 s3, s3, s13
	s_addc_u32 s5, 0, s5
	v_add_co_u32 v3, s3, v3, s3
	s_delay_alu instid0(VALU_DEP_1) | instskip(SKIP_2) | instid1(VALU_DEP_1)
	s_cmp_lg_u32 s3, 0
	s_addc_u32 s5, s2, s5
	s_ashr_i32 s12, s23, 31
	v_readfirstlane_b32 s14, v3
	s_add_u32 s2, s22, s12
	s_mov_b32 s13, s12
	s_addc_u32 s3, s23, s12
	s_delay_alu instid0(SALU_CYCLE_1) | instskip(NEXT) | instid1(SALU_CYCLE_1)
	s_xor_b64 s[2:3], s[2:3], s[12:13]
	s_mul_i32 s15, s2, s5
	s_mul_hi_u32 s16, s2, s14
	s_mul_hi_u32 s13, s2, s5
	;; [unrolled: 1-line block ×3, first 2 shown]
	s_mul_i32 s14, s3, s14
	s_add_u32 s15, s16, s15
	s_addc_u32 s13, 0, s13
	s_mul_hi_u32 s17, s3, s5
	s_add_u32 s14, s15, s14
	s_mul_i32 s5, s3, s5
	s_addc_u32 s13, s13, s18
	s_addc_u32 s14, s17, 0
	s_add_u32 s5, s13, s5
	s_addc_u32 s13, 0, s14
	s_mul_hi_u32 s14, s30, s5
	s_mul_i32 s5, s30, s5
	s_mul_i32 s13, s30, s13
	v_sub_co_u32 v3, s2, s2, s5
	s_add_i32 s14, s14, s13
	s_cmp_lg_u32 s2, 0
	s_delay_alu instid0(VALU_DEP_1) | instskip(SKIP_2) | instid1(VALU_DEP_1)
	v_sub_co_u32 v4, s2, v3, s30
	s_subb_u32 s3, s3, s14
	s_cmp_lg_u32 s2, 0
	v_cmp_le_u32_e32 vcc_lo, s30, v4
	v_sub_co_u32 v7, s2, v4, s30
	s_subb_u32 s5, s3, 0
	s_cmp_lg_u32 s2, 0
	v_cndmask_b32_e64 v8, 0, -1, vcc_lo
	s_subb_u32 s2, s5, 0
	s_cmp_eq_u32 s5, 0
	v_mov_b32_e32 v10, s2
	s_cselect_b32 vcc_lo, -1, 0
	s_cmp_eq_u32 s3, 0
	v_cndmask_b32_e32 v8, -1, v8, vcc_lo
	v_cmp_le_u32_e32 vcc_lo, s30, v3
	s_cselect_b32 s2, -1, 0
	v_cndmask_b32_e64 v9, 0, -1, vcc_lo
	s_delay_alu instid0(VALU_DEP_3) | instskip(NEXT) | instid1(VALU_DEP_2)
	v_cmp_ne_u32_e32 vcc_lo, 0, v8
	v_cndmask_b32_e64 v8, -1, v9, s2
	v_cndmask_b32_e32 v9, s5, v10, vcc_lo
	v_cndmask_b32_e32 v4, v4, v7, vcc_lo
	s_delay_alu instid0(VALU_DEP_3) | instskip(NEXT) | instid1(VALU_DEP_2)
	v_cmp_ne_u32_e32 vcc_lo, 0, v8
	v_cndmask_b32_e32 v3, v3, v4, vcc_lo
	s_delay_alu instid0(VALU_DEP_4) | instskip(NEXT) | instid1(VALU_DEP_2)
	v_cndmask_b32_e32 v7, s3, v9, vcc_lo
	v_xor_b32_e32 v3, s12, v3
	s_delay_alu instid0(VALU_DEP_2) | instskip(NEXT) | instid1(VALU_DEP_2)
	v_xor_b32_e32 v4, s12, v7
	v_sub_co_u32 v15, vcc_lo, v3, s12
	s_delay_alu instid0(VALU_DEP_2)
	v_subrev_co_ci_u32_e32 v16, vcc_lo, s12, v4, vcc_lo
	s_and_not1_b32 vcc_lo, exec_lo, s4
	s_cbranch_vccnz .LBB15_5
.LBB15_4:
	v_cvt_f32_u32_e32 v3, s30
	s_sub_i32 s3, 0, s30
	s_delay_alu instid0(VALU_DEP_1) | instskip(SKIP_2) | instid1(VALU_DEP_1)
	v_rcp_iflag_f32_e32 v3, v3
	s_waitcnt_depctr 0xfff
	v_mul_f32_e32 v3, 0x4f7ffffe, v3
	v_cvt_u32_f32_e32 v3, v3
	s_delay_alu instid0(VALU_DEP_1) | instskip(NEXT) | instid1(VALU_DEP_1)
	v_readfirstlane_b32 s2, v3
	s_mul_i32 s3, s3, s2
	s_delay_alu instid0(SALU_CYCLE_1) | instskip(NEXT) | instid1(SALU_CYCLE_1)
	s_mul_hi_u32 s3, s2, s3
	s_add_i32 s2, s2, s3
	s_delay_alu instid0(SALU_CYCLE_1) | instskip(NEXT) | instid1(SALU_CYCLE_1)
	s_mul_hi_u32 s2, s22, s2
	s_mul_i32 s2, s2, s30
	s_delay_alu instid0(SALU_CYCLE_1) | instskip(NEXT) | instid1(SALU_CYCLE_1)
	s_sub_i32 s2, s22, s2
	s_sub_i32 s3, s2, s30
	s_cmp_ge_u32 s2, s30
	s_cselect_b32 s2, s3, s2
	s_mov_b32 s3, 0
	s_sub_i32 s4, s2, s30
	s_cmp_ge_u32 s2, s30
	s_cselect_b32 s2, s4, s2
	s_delay_alu instid0(SALU_CYCLE_1)
	v_dual_mov_b32 v16, s3 :: v_dual_mov_b32 v15, s2
.LBB15_5:
	s_delay_alu instid0(VALU_DEP_1) | instskip(NEXT) | instid1(VALU_DEP_2)
	v_sub_co_u32 v3, vcc_lo, s22, v15
	v_sub_co_ci_u32_e32 v4, vcc_lo, s23, v16, vcc_lo
	s_delay_alu instid0(VALU_DEP_1)
	v_cmp_gt_i64_e32 vcc_lo, 0, v[3:4]
	s_cbranch_vccnz .LBB15_43
; %bb.6:
	v_mad_u64_u32 v[17:18], null, v11, s8, 0
	s_clause 0x3
	s_load_b64 s[28:29], s[0:1], 0x80
	s_load_b256 s[12:19], s[0:1], 0x50
	s_load_b128 s[24:27], s[0:1], 0x0
	s_load_b64 s[2:3], s[0:1], 0x20
	s_waitcnt vmcnt(0)
	v_lshlrev_b64 v[19:20], 2, v[5:6]
	v_lshlrev_b64 v[5:6], 1, v[13:14]
	v_dual_mov_b32 v7, v18 :: v_dual_and_b32 v0, 0x3ff, v0
	s_delay_alu instid0(VALU_DEP_1) | instskip(SKIP_3) | instid1(VALU_DEP_4)
	v_mad_u64_u32 v[21:22], null, v11, s9, v[7:8]
	v_add_co_u32 v7, vcc_lo, v1, -1
	v_add_co_ci_u32_e32 v8, vcc_lo, -1, v2, vcc_lo
	v_add_co_u32 v9, vcc_lo, v5, -1
	v_mov_b32_e32 v18, v21
	s_delay_alu instid0(VALU_DEP_3)
	v_mul_lo_u32 v12, v8, s6
	v_mul_lo_u32 v24, v7, s7
	v_mad_u64_u32 v[22:23], null, v7, s6, 0
	v_add_co_ci_u32_e32 v10, vcc_lo, -1, v6, vcc_lo
	s_waitcnt lgkmcnt(0)
	v_add_co_u32 v33, vcc_lo, s2, v19
	v_add_co_ci_u32_e32 v34, vcc_lo, s3, v20, vcc_lo
	s_delay_alu instid0(VALU_DEP_4) | instskip(SKIP_1) | instid1(VALU_DEP_1)
	v_add3_u32 v23, v23, v24, v12
	v_add_co_u32 v12, s2, s22, v0
	v_add_co_ci_u32_e64 v19, null, s23, 0, s2
	v_alignbit_b32 v21, v10, v9, 1
	s_delay_alu instid0(VALU_DEP_3) | instskip(SKIP_1) | instid1(VALU_DEP_4)
	v_sub_co_u32 v15, vcc_lo, v12, v15
	v_lshrrev_b32_e32 v20, 1, v10
	v_sub_co_ci_u32_e32 v16, vcc_lo, v19, v16, vcc_lo
	v_mad_u64_u32 v[26:27], null, s12, v11, 0
	v_mul_lo_u32 v30, v21, s21
	v_mad_u64_u32 v[24:25], null, v21, s20, 0
	v_mul_lo_u32 v31, v20, s20
	v_mul_lo_u32 v32, s17, v15
	;; [unrolled: 1-line block ×3, first 2 shown]
	v_mad_u64_u32 v[19:20], null, s16, v15, 0
	v_mul_lo_u32 v36, s15, v7
	v_mul_lo_u32 v37, s14, v8
	v_mad_u64_u32 v[28:29], null, s14, v7, 0
	v_mov_b32_e32 v12, v27
	v_lshlrev_b64 v[17:18], 2, v[17:18]
	v_add3_u32 v20, v20, v35, v32
	v_add3_u32 v25, v25, v30, v31
	v_lshlrev_b64 v[21:22], 2, v[22:23]
	v_mad_u64_u32 v[30:31], null, s13, v11, v[12:13]
	v_add3_u32 v29, v29, v37, v36
	v_add_co_u32 v38, vcc_lo, s26, v17
	v_add_co_ci_u32_e32 v39, vcc_lo, s27, v18, vcc_lo
	v_lshlrev_b64 v[19:20], 2, v[19:20]
	s_delay_alu instid0(VALU_DEP_4) | instskip(NEXT) | instid1(VALU_DEP_4)
	v_lshlrev_b64 v[11:12], 2, v[28:29]
	v_add_co_u32 v35, vcc_lo, v38, v21
	v_mov_b32_e32 v27, v30
	v_add_co_ci_u32_e32 v36, vcc_lo, v39, v22, vcc_lo
	v_lshlrev_b64 v[21:22], 2, v[24:25]
	v_add_co_u32 v23, vcc_lo, v19, v11
	v_add_co_ci_u32_e32 v24, vcc_lo, v20, v12, vcc_lo
	v_lshlrev_b64 v[11:12], 2, v[26:27]
	s_delay_alu instid0(VALU_DEP_4) | instskip(SKIP_2) | instid1(VALU_DEP_3)
	v_add_co_u32 v21, vcc_lo, v33, v21
	v_add_co_ci_u32_e32 v22, vcc_lo, v34, v22, vcc_lo
	s_mul_i32 s2, s17, s30
	v_add_co_u32 v23, vcc_lo, v23, v11
	s_delay_alu instid0(VALU_DEP_4) | instskip(SKIP_1) | instid1(VALU_DEP_2)
	v_add_co_ci_u32_e32 v24, vcc_lo, v24, v12, vcc_lo
	s_mul_hi_u32 s3, s16, s30
	v_add_co_u32 v23, vcc_lo, s24, v23
	s_delay_alu instid0(VALU_DEP_2) | instskip(SKIP_4) | instid1(VALU_DEP_2)
	v_add_co_ci_u32_e32 v24, vcc_lo, s25, v24, vcc_lo
	v_sub_co_u32 v25, vcc_lo, v5, v0
	v_subrev_co_ci_u32_e32 v26, vcc_lo, 0, v6, vcc_lo
	s_add_i32 s3, s3, s2
	s_mul_i32 s2, s16, s30
	v_add_co_u32 v27, vcc_lo, v25, -1
	s_lshl_b64 s[2:3], s[2:3], 2
	v_add_co_ci_u32_e32 v28, vcc_lo, -1, v26, vcc_lo
	v_dual_mov_b32 v30, v4 :: v_dual_mov_b32 v29, v3
	s_sub_u32 s12, 0, s2
	s_subb_u32 s13, 0, s3
	s_branch .LBB15_8
.LBB15_7:                               ;   in Loop: Header=BB15_8 Depth=1
	s_or_b32 exec_lo, exec_lo, s2
	v_sub_co_u32 v29, vcc_lo, v29, s30
	v_subrev_co_ci_u32_e32 v30, vcc_lo, 0, v30, vcc_lo
	v_add_co_u32 v23, s2, v23, s12
	s_delay_alu instid0(VALU_DEP_1) | instskip(NEXT) | instid1(VALU_DEP_3)
	v_add_co_ci_u32_e64 v24, s2, s13, v24, s2
	v_cmp_gt_i64_e32 vcc_lo, 0, v[29:30]
	s_cbranch_vccnz .LBB15_16
.LBB15_8:                               ; =>This Inner Loop Header: Depth=1
	v_dual_mov_b32 v32, s29 :: v_dual_mov_b32 v31, s28
	s_mov_b32 s3, -1
	s_mov_b32 s2, exec_lo
                                        ; implicit-def: $sgpr4
	v_cmpx_ne_u64_e64 v[25:26], v[29:30]
	s_cbranch_execz .LBB15_12
; %bb.9:                                ;   in Loop: Header=BB15_8 Depth=1
	s_mov_b32 s3, 0
	s_mov_b32 s4, exec_lo
                                        ; implicit-def: $vgpr31_vgpr32
	v_cmpx_eq_u64_e64 v[27:28], v[29:30]
	s_cbranch_execz .LBB15_11
; %bb.10:                               ;   in Loop: Header=BB15_8 Depth=1
	global_load_b32 v31, v[21:22], off
	s_mov_b32 s3, exec_lo
	s_waitcnt vmcnt(0)
	v_ashrrev_i32_e32 v32, 31, v31
.LBB15_11:                              ;   in Loop: Header=BB15_8 Depth=1
	s_or_b32 exec_lo, exec_lo, s4
	s_mov_b32 s4, 0xff800000
	s_or_not1_b32 s3, s3, exec_lo
.LBB15_12:                              ;   in Loop: Header=BB15_8 Depth=1
	s_or_b32 exec_lo, exec_lo, s2
	s_waitcnt vmcnt(0)
	v_mov_b32_e32 v37, s4
	s_and_saveexec_b32 s2, s3
	s_cbranch_execz .LBB15_14
; %bb.13:                               ;   in Loop: Header=BB15_8 Depth=1
	v_mul_lo_u32 v32, v32, s10
	v_mul_lo_u32 v39, v31, s11
	v_mad_u64_u32 v[37:38], null, v31, s10, 0
	s_delay_alu instid0(VALU_DEP_1) | instskip(NEXT) | instid1(VALU_DEP_1)
	v_add3_u32 v38, v38, v39, v32
	v_lshlrev_b64 v[31:32], 2, v[37:38]
	s_delay_alu instid0(VALU_DEP_1) | instskip(NEXT) | instid1(VALU_DEP_2)
	v_add_co_u32 v31, vcc_lo, v35, v31
	v_add_co_ci_u32_e32 v32, vcc_lo, v36, v32, vcc_lo
	global_load_b32 v37, v[31:32], off
.LBB15_14:                              ;   in Loop: Header=BB15_8 Depth=1
	s_or_b32 exec_lo, exec_lo, s2
	v_add_co_u32 v31, vcc_lo, v0, v29
	v_add_co_ci_u32_e32 v32, vcc_lo, 0, v30, vcc_lo
	s_mov_b32 s2, exec_lo
	s_delay_alu instid0(VALU_DEP_1)
	v_cmpx_ge_i64_e64 s[22:23], v[31:32]
	s_cbranch_execz .LBB15_7
; %bb.15:                               ;   in Loop: Header=BB15_8 Depth=1
	s_waitcnt vmcnt(0)
	global_store_b32 v[23:24], v37, off
	s_branch .LBB15_7
.LBB15_16:
	s_load_b64 s[2:3], s[0:1], 0x18
	v_add_co_u32 v23, vcc_lo, v15, 2
	v_cmp_lt_i64_e64 s0, 0, v[13:14]
	v_cmp_ne_u64_e64 s1, 0, v[13:14]
	v_lshlrev_b64 v[13:14], 2, v[15:16]
	v_add_co_ci_u32_e32 v21, vcc_lo, 0, v16, vcc_lo
	v_mul_lo_u32 v15, s17, v23
	s_delay_alu instid0(VALU_DEP_2) | instskip(SKIP_3) | instid1(VALU_DEP_2)
	v_mul_lo_u32 v16, s16, v21
	v_mad_u64_u32 v[21:22], null, s16, v23, 0
	v_add_co_u32 v23, vcc_lo, v13, 4
	v_add_co_ci_u32_e32 v13, vcc_lo, 0, v14, vcc_lo
	v_mul_lo_u32 v25, s17, v23
	s_waitcnt lgkmcnt(0)
	s_add_u32 s8, s2, -2
	s_addc_u32 s9, s3, -1
	s_mul_hi_u32 s4, s14, s8
	s_mul_i32 s5, s14, s9
	s_mul_i32 s18, s15, s8
	s_add_i32 s5, s4, s5
	s_mul_i32 s4, s14, s8
	s_add_i32 s5, s5, s18
	s_mul_hi_u32 s31, s6, s8
	s_lshl_b64 s[4:5], s[4:5], 2
	s_mul_i32 s36, s6, s9
	s_add_u32 s34, s24, s4
	s_addc_u32 s35, s25, s5
	s_lshl_b64 s[4:5], s[14:15], 2
	s_mul_i32 s33, s7, s8
	s_sub_u32 s18, 0, s4
	s_subb_u32 s19, 0, s5
	s_add_i32 s5, s31, s36
	s_mul_i32 s4, s6, s8
	s_add_i32 s5, s5, s33
	v_add3_u32 v22, v22, v16, v15
	s_lshl_b64 s[4:5], s[4:5], 2
	v_add_co_u32 v15, vcc_lo, s34, v19
	s_add_u32 s31, s26, s4
	s_addc_u32 s27, s27, s5
	s_lshl_b64 s[4:5], s[6:7], 2
	s_lshl_b64 s[6:7], s[10:11], 2
	s_sub_u32 s17, 0, s4
	s_subb_u32 s26, 0, s5
	s_add_u32 s4, s2, -1
	s_addc_u32 s5, s3, -1
	s_mul_hi_u32 s10, s14, s4
	s_mul_i32 s5, s14, s5
	s_mul_i32 s11, s15, s4
	s_add_i32 s5, s10, s5
	s_mul_i32 s4, s14, s4
	s_add_i32 s5, s5, s11
	v_cmp_gt_i64_e64 s14, s[2:3], 1
	s_lshl_b64 s[4:5], s[4:5], 2
	v_add_co_ci_u32_e32 v16, vcc_lo, s35, v20, vcc_lo
	s_add_u32 s2, s24, s4
	s_addc_u32 s3, s25, s5
	v_mul_lo_u32 v24, s16, v13
	v_mad_u64_u32 v[13:14], null, s16, v23, s[2:3]
	v_add_co_u32 v17, vcc_lo, s31, v17
	v_lshlrev_b64 v[21:22], 2, v[21:22]
	v_add_co_ci_u32_e32 v18, vcc_lo, s27, v18, vcc_lo
	v_add_co_u32 v19, vcc_lo, s2, v19
	v_add_co_ci_u32_e32 v20, vcc_lo, s3, v20, vcc_lo
	s_delay_alu instid0(VALU_DEP_4)
	v_add_co_u32 v21, vcc_lo, s2, v21
	v_add3_u32 v14, v25, v14, v24
	v_add_co_ci_u32_e32 v22, vcc_lo, s3, v22, vcc_lo
	s_branch .LBB15_18
.LBB15_17:                              ;   in Loop: Header=BB15_18 Depth=1
	v_sub_co_u32 v3, vcc_lo, v3, s30
	v_subrev_co_ci_u32_e32 v4, vcc_lo, 0, v4, vcc_lo
	v_add_co_u32 v15, vcc_lo, v15, s12
	v_add_co_ci_u32_e32 v16, vcc_lo, s13, v16, vcc_lo
	v_add_co_u32 v13, vcc_lo, v13, s12
	v_add_co_u32 v19, s2, v19, s12
	v_add_co_ci_u32_e32 v14, vcc_lo, s13, v14, vcc_lo
	v_cmp_gt_i64_e32 vcc_lo, 0, v[3:4]
	v_add_co_ci_u32_e64 v20, s2, s13, v20, s2
	v_add_co_u32 v21, s2, v21, s12
	s_delay_alu instid0(VALU_DEP_1)
	v_add_co_ci_u32_e64 v22, s2, s13, v22, s2
	s_cbranch_vccnz .LBB15_43
.LBB15_18:                              ; =>This Loop Header: Depth=1
                                        ;     Child Loop BB15_29 Depth 2
	v_add_co_u32 v25, vcc_lo, v3, v0
	v_add_co_ci_u32_e32 v26, vcc_lo, 0, v4, vcc_lo
	v_dual_mov_b32 v27, s28 :: v_dual_mov_b32 v28, s29
	s_mov_b32 s15, 0
	s_delay_alu instid0(VALU_DEP_2) | instskip(NEXT) | instid1(VALU_DEP_1)
	v_cmp_le_i64_e64 s2, v[25:26], v[5:6]
	s_and_b32 s3, s0, s2
	s_delay_alu instid0(SALU_CYCLE_1)
	s_and_saveexec_b32 s4, s3
	s_cbranch_execz .LBB15_26
; %bb.19:                               ;   in Loop: Header=BB15_18 Depth=1
	v_and_b32_e32 v23, 1, v25
	v_dual_mov_b32 v27, s28 :: v_dual_mov_b32 v28, s29
	s_delay_alu instid0(VALU_DEP_2)
	v_cmp_eq_u32_e32 vcc_lo, 1, v23
	s_and_saveexec_b32 s5, vcc_lo
	s_cbranch_execz .LBB15_21
; %bb.20:                               ;   in Loop: Header=BB15_18 Depth=1
	v_alignbit_b32 v27, v26, v25, 1
	v_lshrrev_b32_e32 v28, 1, v26
	s_delay_alu instid0(VALU_DEP_2) | instskip(SKIP_1) | instid1(VALU_DEP_3)
	v_mul_lo_u32 v29, v27, s21
	v_mad_u64_u32 v[23:24], null, v27, s20, 0
	v_mul_lo_u32 v27, v28, s20
	s_delay_alu instid0(VALU_DEP_1) | instskip(NEXT) | instid1(VALU_DEP_1)
	v_add3_u32 v24, v24, v29, v27
	v_lshlrev_b64 v[23:24], 2, v[23:24]
	s_delay_alu instid0(VALU_DEP_1) | instskip(NEXT) | instid1(VALU_DEP_1)
	v_add_co_u32 v23, s3, v33, v23
	v_add_co_ci_u32_e64 v24, s3, v34, v24, s3
	global_load_b32 v27, v[23:24], off
	s_waitcnt vmcnt(0)
	v_ashrrev_i32_e32 v28, 31, v27
.LBB15_21:                              ;   in Loop: Header=BB15_18 Depth=1
	s_or_b32 exec_lo, exec_lo, s5
	s_mov_b32 s10, 0
	s_mov_b32 s5, exec_lo
	v_cmpx_lt_i64_e64 v[25:26], v[9:10]
	s_cbranch_execz .LBB15_25
; %bb.22:                               ;   in Loop: Header=BB15_18 Depth=1
	v_dual_mov_b32 v23, s28 :: v_dual_mov_b32 v24, s29
	s_and_saveexec_b32 s3, vcc_lo
	s_cbranch_execz .LBB15_24
; %bb.23:                               ;   in Loop: Header=BB15_18 Depth=1
	v_add_co_u32 v23, vcc_lo, v25, 2
	v_add_co_ci_u32_e32 v24, vcc_lo, 0, v26, vcc_lo
	s_delay_alu instid0(VALU_DEP_1) | instskip(SKIP_1) | instid1(VALU_DEP_2)
	v_alignbit_b32 v29, v24, v23, 1
	v_lshrrev_b32_e32 v30, 1, v24
	v_mul_lo_u32 v31, v29, s21
	v_mad_u64_u32 v[23:24], null, v29, s20, 0
	s_delay_alu instid0(VALU_DEP_3) | instskip(NEXT) | instid1(VALU_DEP_1)
	v_mul_lo_u32 v29, v30, s20
	v_add3_u32 v24, v24, v31, v29
	s_delay_alu instid0(VALU_DEP_1) | instskip(NEXT) | instid1(VALU_DEP_1)
	v_lshlrev_b64 v[23:24], 2, v[23:24]
	v_add_co_u32 v23, vcc_lo, v33, v23
	s_delay_alu instid0(VALU_DEP_2)
	v_add_co_ci_u32_e32 v24, vcc_lo, v34, v24, vcc_lo
	global_load_b32 v23, v[23:24], off
	s_waitcnt vmcnt(0)
	v_ashrrev_i32_e32 v24, 31, v23
.LBB15_24:                              ;   in Loop: Header=BB15_18 Depth=1
	s_or_b32 exec_lo, exec_lo, s3
	s_delay_alu instid0(VALU_DEP_1)
	v_cmp_ne_u64_e32 vcc_lo, v[23:24], v[27:28]
	s_and_b32 s10, vcc_lo, exec_lo
.LBB15_25:                              ;   in Loop: Header=BB15_18 Depth=1
	s_or_b32 exec_lo, exec_lo, s5
	s_delay_alu instid0(SALU_CYCLE_1)
	s_and_b32 s15, s10, exec_lo
.LBB15_26:                              ;   in Loop: Header=BB15_18 Depth=1
	s_or_b32 exec_lo, exec_lo, s4
	s_delay_alu instid0(SALU_CYCLE_1)
	s_and_not1_b32 vcc_lo, exec_lo, s14
	s_cbranch_vccnz .LBB15_17
; %bb.27:                               ;   in Loop: Header=BB15_18 Depth=1
	v_mad_u64_u32 v[23:24], null, s6, v27, v[17:18]
	v_mul_lo_u32 v28, s6, v28
	v_mul_lo_u32 v27, s7, v27
	v_cmp_gt_i64_e64 s4, 1, v[25:26]
	v_cmp_lt_i64_e32 vcc_lo, s[22:23], v[25:26]
	v_cmp_lt_i64_e64 s3, v[25:26], v[5:6]
	v_dual_mov_b32 v26, v22 :: v_dual_mov_b32 v25, v21
	v_dual_mov_b32 v30, v14 :: v_dual_mov_b32 v29, v13
	v_add3_u32 v24, v27, v24, v28
	v_dual_mov_b32 v28, v20 :: v_dual_mov_b32 v27, v19
	v_dual_mov_b32 v32, v16 :: v_dual_mov_b32 v31, v15
	s_or_b32 s16, s1, s4
	s_xor_b32 s24, s2, -1
	s_mov_b64 s[10:11], s[8:9]
	s_branch .LBB15_29
.LBB15_28:                              ;   in Loop: Header=BB15_29 Depth=2
	s_or_b32 exec_lo, exec_lo, s5
	v_add_co_u32 v31, s4, v31, s18
	s_delay_alu instid0(VALU_DEP_1) | instskip(SKIP_1) | instid1(VALU_DEP_1)
	v_add_co_ci_u32_e64 v32, s4, s19, v32, s4
	v_add_co_u32 v23, s4, v23, s17
	v_add_co_ci_u32_e64 v24, s4, s26, v24, s4
	v_add_co_u32 v29, s4, v29, s18
	s_delay_alu instid0(VALU_DEP_1) | instskip(SKIP_1) | instid1(VALU_DEP_1)
	v_add_co_ci_u32_e64 v30, s4, s19, v30, s4
	v_add_co_u32 v27, s4, v27, s18
	v_add_co_ci_u32_e64 v28, s4, s19, v28, s4
	v_add_co_u32 v25, s4, v25, s18
	s_add_u32 s10, s10, -1
	v_add_co_ci_u32_e64 v26, s4, s19, v26, s4
	s_addc_u32 s11, s11, -1
	s_delay_alu instid0(SALU_CYCLE_1)
	s_cmp_eq_u64 s[10:11], -1
	s_cbranch_scc1 .LBB15_17
.LBB15_29:                              ;   Parent Loop BB15_18 Depth=1
                                        ; =>  This Inner Loop Header: Depth=2
	v_cmp_ge_i64_e64 s4, s[10:11], v[7:8]
	s_mov_b32 s25, 0
	s_waitcnt vmcnt(0)
	s_waitcnt_vscnt null, 0x0
	s_barrier
	buffer_gl0_inv
	s_or_b32 s5, s24, s4
                                        ; implicit-def: $sgpr4
	s_delay_alu instid0(SALU_CYCLE_1) | instskip(NEXT) | instid1(SALU_CYCLE_1)
	s_and_saveexec_b32 s27, s5
	s_xor_b32 s5, exec_lo, s27
	s_cbranch_execnz .LBB15_32
; %bb.30:                               ;   in Loop: Header=BB15_29 Depth=2
	s_or_saveexec_b32 s27, s5
	v_mov_b32_e32 v35, s4
	s_xor_b32 exec_lo, exec_lo, s27
	s_cbranch_execnz .LBB15_33
.LBB15_31:                              ;   in Loop: Header=BB15_29 Depth=2
	s_or_b32 exec_lo, exec_lo, s27
	s_and_saveexec_b32 s5, s25
	s_cbranch_execz .LBB15_28
	s_branch .LBB15_42
.LBB15_32:                              ;   in Loop: Header=BB15_29 Depth=2
	v_cmp_lt_i64_e64 s4, s[10:11], v[1:2]
	s_delay_alu instid0(VALU_DEP_1) | instskip(NEXT) | instid1(SALU_CYCLE_1)
	s_and_b32 s4, s16, s4
	s_and_b32 s4, s4, s2
	s_delay_alu instid0(SALU_CYCLE_1) | instskip(NEXT) | instid1(SALU_CYCLE_1)
	s_or_b32 s4, vcc_lo, s4
	s_xor_b32 s25, s4, -1
	s_mov_b32 s4, 0xff800000
	s_and_b32 s25, s25, exec_lo
	s_or_saveexec_b32 s27, s5
	v_mov_b32_e32 v35, s4
	s_xor_b32 exec_lo, exec_lo, s27
	s_cbranch_execz .LBB15_31
.LBB15_33:                              ;   in Loop: Header=BB15_29 Depth=2
	v_add_co_u32 v35, s4, v27, v11
	s_delay_alu instid0(VALU_DEP_1)
	v_add_co_ci_u32_e64 v36, s4, v28, v12, s4
	v_mov_b32_e32 v37, 0xff800000
	global_load_b32 v35, v[35:36], off
	v_mov_b32_e32 v36, 0xff800000
	s_waitcnt vmcnt(0)
	v_mov_b32_e32 v38, v35
	s_and_saveexec_b32 s5, s3
	s_cbranch_execz .LBB15_37
; %bb.34:                               ;   in Loop: Header=BB15_29 Depth=2
	v_add_co_u32 v37, s4, v29, v11
	s_delay_alu instid0(VALU_DEP_1)
	v_add_co_ci_u32_e64 v38, s4, v30, v12, s4
	s_mov_b32 s31, exec_lo
	global_load_b32 v37, v[37:38], off
	v_mov_b32_e32 v38, v35
	s_waitcnt vmcnt(0)
	v_cmpx_gt_f32_e32 v37, v35
; %bb.35:                               ;   in Loop: Header=BB15_29 Depth=2
	v_mov_b32_e32 v38, v37
; %bb.36:                               ;   in Loop: Header=BB15_29 Depth=2
	s_or_b32 exec_lo, exec_lo, s31
.LBB15_37:                              ;   in Loop: Header=BB15_29 Depth=2
	s_delay_alu instid0(SALU_CYCLE_1)
	s_or_b32 exec_lo, exec_lo, s5
	s_and_saveexec_b32 s5, s15
	s_cbranch_execz .LBB15_41
; %bb.38:                               ;   in Loop: Header=BB15_29 Depth=2
	v_add_co_u32 v39, s4, v25, v11
	s_delay_alu instid0(VALU_DEP_1)
	v_add_co_ci_u32_e64 v40, s4, v26, v12, s4
	s_mov_b32 s31, exec_lo
	global_load_b32 v36, v[39:40], off
	s_waitcnt vmcnt(0)
	v_cmpx_gt_f32_e32 v36, v38
; %bb.39:                               ;   in Loop: Header=BB15_29 Depth=2
	v_mov_b32_e32 v38, v36
; %bb.40:                               ;   in Loop: Header=BB15_29 Depth=2
	s_or_b32 exec_lo, exec_lo, s31
.LBB15_41:                              ;   in Loop: Header=BB15_29 Depth=2
	s_delay_alu instid0(SALU_CYCLE_1) | instskip(SKIP_3) | instid1(VALU_DEP_1)
	s_or_b32 exec_lo, exec_lo, s5
	global_load_b32 v39, v[23:24], off
	v_cmp_neq_f32_e64 s4, 0xff800000, v38
	s_or_b32 s25, s25, exec_lo
	v_cndmask_b32_e64 v38, 0, v38, s4
	s_delay_alu instid0(VALU_DEP_1) | instskip(NEXT) | instid1(VALU_DEP_1)
	v_sub_f32_e32 v36, v36, v38
	v_dual_sub_f32 v35, v35, v38 :: v_dual_mul_f32 v46, 0x3fb8aa3b, v36
	s_delay_alu instid0(VALU_DEP_1) | instskip(SKIP_1) | instid1(VALU_DEP_3)
	v_dual_sub_f32 v37, v37, v38 :: v_dual_mul_f32 v40, 0x3fb8aa3b, v35
	v_cmp_ngt_f32_e64 s4, 0xc2ce8ed0, v35
	v_rndne_f32_e32 v48, v46
	s_delay_alu instid0(VALU_DEP_3) | instskip(NEXT) | instid1(VALU_DEP_4)
	v_rndne_f32_e32 v43, v40
	v_mul_f32_e32 v41, 0x3fb8aa3b, v37
	v_fma_f32 v42, 0x3fb8aa3b, v35, -v40
	s_delay_alu instid0(VALU_DEP_3) | instskip(NEXT) | instid1(VALU_DEP_3)
	v_sub_f32_e32 v40, v40, v43
	v_rndne_f32_e32 v45, v41
	v_fma_f32 v44, 0x3fb8aa3b, v37, -v41
	v_cvt_i32_f32_e32 v43, v43
	s_delay_alu instid0(VALU_DEP_3) | instskip(SKIP_1) | instid1(VALU_DEP_1)
	v_sub_f32_e32 v41, v41, v45
	v_fma_f32 v47, 0x3fb8aa3b, v36, -v46
	v_dual_fmac_f32 v44, 0x32a5705f, v37 :: v_dual_fmac_f32 v47, 0x32a5705f, v36
	s_delay_alu instid0(VALU_DEP_1) | instskip(SKIP_1) | instid1(VALU_DEP_2)
	v_dual_fmac_f32 v42, 0x32a5705f, v35 :: v_dual_add_f32 v41, v41, v44
	v_cvt_i32_f32_e32 v44, v45
	v_add_f32_e32 v40, v40, v42
	s_delay_alu instid0(VALU_DEP_3) | instskip(NEXT) | instid1(VALU_DEP_1)
	v_exp_f32_e32 v41, v41
	v_exp_f32_e32 v40, v40
	s_waitcnt_depctr 0xfff
	v_ldexp_f32 v41, v41, v44
	v_ldexp_f32 v40, v40, v43
	v_cvt_i32_f32_e32 v43, v48
	s_delay_alu instid0(VALU_DEP_2) | instskip(SKIP_1) | instid1(VALU_DEP_1)
	v_cndmask_b32_e64 v40, 0, v40, s4
	v_cmp_ngt_f32_e64 s4, 0xc2ce8ed0, v37
	v_cndmask_b32_e64 v41, 0, v41, s4
	v_cmp_nlt_f32_e64 s4, 0x42b17218, v35
	s_delay_alu instid0(VALU_DEP_1) | instskip(SKIP_1) | instid1(VALU_DEP_1)
	v_cndmask_b32_e64 v35, 0x7f800000, v40, s4
	v_cmp_nlt_f32_e64 s4, 0x42b17218, v37
	v_cndmask_b32_e64 v37, 0x7f800000, v41, s4
	v_cmp_ngt_f32_e64 s4, 0xc2ce8ed0, v36
	s_delay_alu instid0(VALU_DEP_2) | instskip(NEXT) | instid1(VALU_DEP_1)
	v_dual_add_f32 v35, v35, v37 :: v_dual_sub_f32 v42, v46, v48
	v_add_f32_e32 v42, v42, v47
	s_delay_alu instid0(VALU_DEP_1) | instskip(SKIP_2) | instid1(VALU_DEP_1)
	v_exp_f32_e32 v42, v42
	s_waitcnt_depctr 0xfff
	v_ldexp_f32 v42, v42, v43
	v_cndmask_b32_e64 v40, 0, v42, s4
	v_cmp_nlt_f32_e64 s4, 0x42b17218, v36
	s_delay_alu instid0(VALU_DEP_1) | instskip(NEXT) | instid1(VALU_DEP_1)
	v_cndmask_b32_e64 v36, 0x7f800000, v40, s4
	v_add_f32_e32 v35, v36, v35
	s_delay_alu instid0(VALU_DEP_1) | instskip(NEXT) | instid1(VALU_DEP_1)
	v_cmp_gt_f32_e64 s4, 0x800000, v35
	v_cndmask_b32_e64 v36, 1.0, 0x4f800000, s4
	s_delay_alu instid0(VALU_DEP_1) | instskip(NEXT) | instid1(VALU_DEP_1)
	v_mul_f32_e32 v35, v35, v36
	v_log_f32_e32 v35, v35
	s_waitcnt_depctr 0xfff
	v_mul_f32_e32 v36, 0x3f317217, v35
	v_cmp_gt_f32_e64 s5, 0x7f800000, |v35|
	s_delay_alu instid0(VALU_DEP_2) | instskip(NEXT) | instid1(VALU_DEP_1)
	v_fma_f32 v37, 0x3f317217, v35, -v36
	v_fmac_f32_e32 v37, 0x3377d1cf, v35
	s_delay_alu instid0(VALU_DEP_1) | instskip(NEXT) | instid1(VALU_DEP_1)
	v_add_f32_e32 v36, v36, v37
	v_cndmask_b32_e64 v35, v35, v36, s5
	v_cndmask_b32_e64 v36, 0, 0x41b17218, s4
	s_delay_alu instid0(VALU_DEP_1) | instskip(NEXT) | instid1(VALU_DEP_1)
	v_sub_f32_e32 v35, v35, v36
	v_add_f32_e32 v35, v38, v35
	s_waitcnt vmcnt(0)
	s_delay_alu instid0(VALU_DEP_1)
	v_add_f32_e32 v35, v39, v35
	s_or_b32 exec_lo, exec_lo, s27
	s_and_saveexec_b32 s5, s25
	s_cbranch_execz .LBB15_28
.LBB15_42:                              ;   in Loop: Header=BB15_29 Depth=2
	v_add_co_u32 v36, s4, v31, v11
	s_delay_alu instid0(VALU_DEP_1)
	v_add_co_ci_u32_e64 v37, s4, v32, v12, s4
	global_store_b32 v[36:37], v35, off
	s_branch .LBB15_28
.LBB15_43:
	s_nop 0
	s_sendmsg sendmsg(MSG_DEALLOC_VGPRS)
	s_endpgm
.LBB15_44:
                                        ; implicit-def: $vgpr15_vgpr16
	s_branch .LBB15_4
	.section	.rodata,"a",@progbits
	.p2align	6, 0x0
	.amdhsa_kernel _ZN2at6native12_GLOBAL__N_137ctc_loss_backward_log_beta_gpu_kernelIfiEEvPT_PKS3_PKllPKT0_S8_lllllllS8_lll
		.amdhsa_group_segment_fixed_size 0
		.amdhsa_private_segment_fixed_size 0
		.amdhsa_kernarg_size 392
		.amdhsa_user_sgpr_count 14
		.amdhsa_user_sgpr_dispatch_ptr 0
		.amdhsa_user_sgpr_queue_ptr 0
		.amdhsa_user_sgpr_kernarg_segment_ptr 1
		.amdhsa_user_sgpr_dispatch_id 0
		.amdhsa_user_sgpr_private_segment_size 0
		.amdhsa_wavefront_size32 1
		.amdhsa_uses_dynamic_stack 0
		.amdhsa_enable_private_segment 0
		.amdhsa_system_sgpr_workgroup_id_x 1
		.amdhsa_system_sgpr_workgroup_id_y 1
		.amdhsa_system_sgpr_workgroup_id_z 0
		.amdhsa_system_sgpr_workgroup_info 0
		.amdhsa_system_vgpr_workitem_id 1
		.amdhsa_next_free_vgpr 49
		.amdhsa_next_free_sgpr 37
		.amdhsa_reserve_vcc 1
		.amdhsa_float_round_mode_32 0
		.amdhsa_float_round_mode_16_64 0
		.amdhsa_float_denorm_mode_32 3
		.amdhsa_float_denorm_mode_16_64 3
		.amdhsa_dx10_clamp 1
		.amdhsa_ieee_mode 1
		.amdhsa_fp16_overflow 0
		.amdhsa_workgroup_processor_mode 1
		.amdhsa_memory_ordered 1
		.amdhsa_forward_progress 0
		.amdhsa_shared_vgpr_count 0
		.amdhsa_exception_fp_ieee_invalid_op 0
		.amdhsa_exception_fp_denorm_src 0
		.amdhsa_exception_fp_ieee_div_zero 0
		.amdhsa_exception_fp_ieee_overflow 0
		.amdhsa_exception_fp_ieee_underflow 0
		.amdhsa_exception_fp_ieee_inexact 0
		.amdhsa_exception_int_div_zero 0
	.end_amdhsa_kernel
	.section	.text._ZN2at6native12_GLOBAL__N_137ctc_loss_backward_log_beta_gpu_kernelIfiEEvPT_PKS3_PKllPKT0_S8_lllllllS8_lll,"axG",@progbits,_ZN2at6native12_GLOBAL__N_137ctc_loss_backward_log_beta_gpu_kernelIfiEEvPT_PKS3_PKllPKT0_S8_lllllllS8_lll,comdat
.Lfunc_end15:
	.size	_ZN2at6native12_GLOBAL__N_137ctc_loss_backward_log_beta_gpu_kernelIfiEEvPT_PKS3_PKllPKT0_S8_lllllllS8_lll, .Lfunc_end15-_ZN2at6native12_GLOBAL__N_137ctc_loss_backward_log_beta_gpu_kernelIfiEEvPT_PKS3_PKllPKT0_S8_lllllllS8_lll
                                        ; -- End function
	.section	.AMDGPU.csdata,"",@progbits
; Kernel info:
; codeLenInByte = 3728
; NumSgprs: 39
; NumVgprs: 49
; ScratchSize: 0
; MemoryBound: 0
; FloatMode: 240
; IeeeMode: 1
; LDSByteSize: 0 bytes/workgroup (compile time only)
; SGPRBlocks: 4
; VGPRBlocks: 6
; NumSGPRsForWavesPerEU: 39
; NumVGPRsForWavesPerEU: 49
; Occupancy: 16
; WaveLimiterHint : 1
; COMPUTE_PGM_RSRC2:SCRATCH_EN: 0
; COMPUTE_PGM_RSRC2:USER_SGPR: 14
; COMPUTE_PGM_RSRC2:TRAP_HANDLER: 0
; COMPUTE_PGM_RSRC2:TGID_X_EN: 1
; COMPUTE_PGM_RSRC2:TGID_Y_EN: 1
; COMPUTE_PGM_RSRC2:TGID_Z_EN: 0
; COMPUTE_PGM_RSRC2:TIDIG_COMP_CNT: 1
	.section	.text._ZN2at6native12_GLOBAL__N_145ctc_loss_backward_collect_nonblank_gpu_kernelIfiEEvPT_PKS3_lS6_S6_S6_PKlPKT0_S8_S6_llllllllllllS8_llb,"axG",@progbits,_ZN2at6native12_GLOBAL__N_145ctc_loss_backward_collect_nonblank_gpu_kernelIfiEEvPT_PKS3_lS6_S6_S6_PKlPKT0_S8_S6_llllllllllllS8_llb,comdat
	.globl	_ZN2at6native12_GLOBAL__N_145ctc_loss_backward_collect_nonblank_gpu_kernelIfiEEvPT_PKS3_lS6_S6_S6_PKlPKT0_S8_S6_llllllllllllS8_llb ; -- Begin function _ZN2at6native12_GLOBAL__N_145ctc_loss_backward_collect_nonblank_gpu_kernelIfiEEvPT_PKS3_lS6_S6_S6_PKlPKT0_S8_S6_llllllllllllS8_llb
	.p2align	8
	.type	_ZN2at6native12_GLOBAL__N_145ctc_loss_backward_collect_nonblank_gpu_kernelIfiEEvPT_PKS3_lS6_S6_S6_PKlPKT0_S8_S6_llllllllllllS8_llb,@function
_ZN2at6native12_GLOBAL__N_145ctc_loss_backward_collect_nonblank_gpu_kernelIfiEEvPT_PKS3_lS6_S6_S6_PKlPKT0_S8_S6_llllllllllllS8_llb: ; @_ZN2at6native12_GLOBAL__N_145ctc_loss_backward_collect_nonblank_gpu_kernelIfiEEvPT_PKS3_lS6_S6_S6_PKlPKT0_S8_S6_llllllllllllS8_llb
; %bb.0:
	s_clause 0x1
	s_load_b32 s2, s[0:1], 0xdc
	s_load_b128 s[4:7], s[0:1], 0xb8
	v_bfe_u32 v1, v0, 10, 10
	s_waitcnt lgkmcnt(0)
	s_lshr_b32 s3, s2, 16
	s_delay_alu instid0(VALU_DEP_1) | instid1(SALU_CYCLE_1)
	v_mad_u64_u32 v[2:3], null, s15, s3, v[1:2]
	v_mov_b32_e32 v3, 0
	s_mov_b32 s3, exec_lo
	s_delay_alu instid0(VALU_DEP_1)
	v_cmpx_gt_i64_e64 s[6:7], v[2:3]
	s_cbranch_execz .LBB16_7
; %bb.1:
	s_load_b64 s[6:7], s[0:1], 0x40
	v_lshlrev_b64 v[6:7], 3, v[2:3]
	v_dual_mov_b32 v1, v3 :: v_dual_and_b32 v0, 0x3ff, v0
	s_and_b32 s2, s2, 0xffff
	s_waitcnt lgkmcnt(0)
	s_delay_alu instid0(VALU_DEP_2) | instskip(NEXT) | instid1(VALU_DEP_3)
	v_add_co_u32 v4, vcc_lo, s6, v6
	v_add_co_ci_u32_e32 v5, vcc_lo, s7, v7, vcc_lo
	global_load_b64 v[8:9], v[4:5], off
	v_mad_u64_u32 v[4:5], null, s2, s14, v[0:1]
	s_waitcnt vmcnt(0)
	s_delay_alu instid0(VALU_DEP_1)
	v_cmp_lt_i64_e32 vcc_lo, v[4:5], v[8:9]
	s_and_b32 exec_lo, exec_lo, vcc_lo
	s_cbranch_execz .LBB16_7
; %bb.2:
	s_clause 0x2
	s_load_b64 s[2:3], s[0:1], 0x48
	s_load_b32 s8, s[0:1], 0xc8
	s_load_b64 s[6:7], s[0:1], 0x30
	v_lshlrev_b64 v[0:1], 2, v[2:3]
	s_mov_b64 s[28:29], 0
	s_waitcnt lgkmcnt(0)
	s_delay_alu instid0(VALU_DEP_1) | instskip(NEXT) | instid1(VALU_DEP_2)
	v_add_co_u32 v0, vcc_lo, s2, v0
	v_add_co_ci_u32_e32 v1, vcc_lo, s3, v1, vcc_lo
	v_add_co_u32 v9, vcc_lo, s6, v6
	v_add_co_ci_u32_e32 v10, vcc_lo, s7, v7, vcc_lo
	s_bitcmp1_b32 s8, 0
	global_load_b32 v8, v[0:1], off
	global_load_b64 v[0:1], v[9:10], off
	s_cselect_b32 s3, -1, 0
	s_delay_alu instid0(SALU_CYCLE_1)
	s_xor_b32 s3, s3, -1
	s_waitcnt vmcnt(1)
	v_cmp_neq_f32_e32 vcc_lo, 0x7f800000, v8
	s_waitcnt vmcnt(0)
	v_cmp_lt_i64_e64 s2, 0, v[0:1]
	s_or_b32 s3, s3, vcc_lo
	s_delay_alu instid0(VALU_DEP_1) | instid1(SALU_CYCLE_1)
	s_and_b32 s2, s3, s2
	s_delay_alu instid0(SALU_CYCLE_1)
	s_and_b32 exec_lo, exec_lo, s2
	s_cbranch_execz .LBB16_7
; %bb.3:
	s_load_b64 s[2:3], s[0:1], 0xb0
	v_mul_lo_u32 v3, v5, s4
	v_mul_lo_u32 v11, v4, s5
	v_mad_u64_u32 v[9:10], null, v4, s4, 0
	s_load_b256 s[36:43], s[0:1], 0x0
	s_delay_alu instid0(VALU_DEP_1) | instskip(NEXT) | instid1(VALU_DEP_1)
	v_add3_u32 v10, v10, v11, v3
	v_lshlrev_b64 v[9:10], 2, v[9:10]
	s_waitcnt lgkmcnt(0)
	v_add_co_u32 v6, vcc_lo, s2, v6
	v_add_co_ci_u32_e32 v7, vcc_lo, s3, v7, vcc_lo
	s_load_b64 s[2:3], s[0:1], 0x38
	global_load_b64 v[6:7], v[6:7], off
	s_waitcnt vmcnt(0)
	v_lshlrev_b64 v[6:7], 2, v[6:7]
	s_waitcnt lgkmcnt(0)
	s_delay_alu instid0(VALU_DEP_1) | instskip(NEXT) | instid1(VALU_DEP_2)
	v_add_co_u32 v3, vcc_lo, s2, v6
	v_add_co_ci_u32_e32 v7, vcc_lo, s3, v7, vcc_lo
	s_delay_alu instid0(VALU_DEP_2) | instskip(NEXT) | instid1(VALU_DEP_2)
	v_add_co_u32 v6, vcc_lo, v3, v9
	v_add_co_ci_u32_e32 v7, vcc_lo, v7, v10, vcc_lo
	global_load_b32 v24, v[6:7], off
	v_mad_u64_u32 v[6:7], null, v2, s40, 0
	s_delay_alu instid0(VALU_DEP_1) | instskip(NEXT) | instid1(VALU_DEP_1)
	v_mov_b32_e32 v3, v7
	v_mad_u64_u32 v[9:10], null, v2, s41, v[3:4]
	v_lshlrev_b64 v[3:4], 1, v[4:5]
	s_delay_alu instid0(VALU_DEP_1) | instskip(NEXT) | instid1(VALU_DEP_3)
	v_or_b32_e32 v5, 1, v3
	v_mov_b32_e32 v7, v9
	s_delay_alu instid0(VALU_DEP_1) | instskip(NEXT) | instid1(VALU_DEP_1)
	v_lshlrev_b64 v[6:7], 2, v[6:7]
	v_add_co_u32 v6, vcc_lo, s38, v6
	s_delay_alu instid0(VALU_DEP_2)
	v_add_co_ci_u32_e32 v7, vcc_lo, s39, v7, vcc_lo
	global_load_b32 v6, v[6:7], off
	s_clause 0x2
	s_load_b512 s[4:19], s[0:1], 0x50
	s_load_b256 s[20:27], s[0:1], 0x90
	s_load_b128 s[0:3], s[0:1], 0x20
	s_waitcnt lgkmcnt(0)
	v_mad_u64_u32 v[9:10], null, v2, s6, 0
	v_mad_u64_u32 v[11:12], null, v2, s12, 0
	v_mul_lo_u32 v19, v4, s20
	v_mul_lo_u32 v20, v5, s21
	v_mad_u64_u32 v[17:18], null, v5, s20, 0
	v_mul_lo_u32 v25, v4, s26
	v_mul_lo_u32 v26, v5, s27
	v_mad_u64_u32 v[3:4], null, v5, s26, 0
	v_mov_b32_e32 v5, v10
	v_mad_u64_u32 v[13:14], null, v2, s16, 0
	v_mad_u64_u32 v[15:16], null, v2, s22, 0
	v_add3_u32 v18, v18, v20, v19
	v_add3_u32 v4, v4, v26, v25
	s_delay_alu instid0(VALU_DEP_4) | instskip(NEXT) | instid1(VALU_DEP_3)
	v_mov_b32_e32 v10, v14
	v_lshlrev_b64 v[17:18], 2, v[17:18]
	s_waitcnt vmcnt(0)
	v_mad_u64_u32 v[19:20], null, v2, s7, v[5:6]
	v_mov_b32_e32 v7, v12
	v_mov_b32_e32 v12, v16
	s_delay_alu instid0(VALU_DEP_2) | instskip(SKIP_2) | instid1(VALU_DEP_4)
	v_mad_u64_u32 v[20:21], null, v2, s13, v[7:8]
	v_mad_u64_u32 v[21:22], null, v2, s17, v[10:11]
	v_mov_b32_e32 v10, v19
	v_mad_u64_u32 v[22:23], null, v2, s23, v[12:13]
	v_lshlrev_b64 v[2:3], 2, v[3:4]
	v_mov_b32_e32 v12, v20
	s_delay_alu instid0(VALU_DEP_4)
	v_lshlrev_b64 v[4:5], 2, v[9:10]
	v_mov_b32_e32 v14, v21
	v_ashrrev_i32_e32 v7, 31, v24
	v_mul_lo_u32 v21, v24, s15
	v_lshlrev_b64 v[11:12], 2, v[11:12]
	v_mov_b32_e32 v16, v22
	v_lshlrev_b64 v[9:10], 2, v[13:14]
	v_mul_lo_u32 v23, v7, s14
	v_mul_lo_u32 v22, v24, s9
	;; [unrolled: 1-line block ×3, first 2 shown]
	v_lshlrev_b64 v[13:14], 2, v[15:16]
	v_add_co_u32 v15, vcc_lo, s2, v11
	v_add_co_ci_u32_e32 v16, vcc_lo, s3, v12, vcc_lo
	v_add_co_u32 v19, vcc_lo, s36, v4
	v_add_co_ci_u32_e32 v20, vcc_lo, s37, v5, vcc_lo
	v_mad_u64_u32 v[4:5], null, v24, s14, 0
	v_mad_u64_u32 v[11:12], null, v24, s8, 0
	v_add_co_u32 v9, vcc_lo, s42, v9
	v_add_co_ci_u32_e32 v10, vcc_lo, s43, v10, vcc_lo
	s_delay_alu instid0(VALU_DEP_4) | instskip(SKIP_3) | instid1(VALU_DEP_4)
	v_add3_u32 v5, v5, v21, v23
	v_add_co_u32 v21, vcc_lo, s0, v13
	v_add3_u32 v12, v12, v22, v7
	v_add_co_ci_u32_e32 v23, vcc_lo, s1, v14, vcc_lo
	v_lshlrev_b64 v[4:5], 2, v[4:5]
	v_add_co_u32 v7, vcc_lo, v9, v17
	s_delay_alu instid0(VALU_DEP_4) | instskip(SKIP_1) | instid1(VALU_DEP_4)
	v_lshlrev_b64 v[12:13], 2, v[11:12]
	v_add_co_ci_u32_e32 v9, vcc_lo, v10, v18, vcc_lo
	v_add_co_u32 v10, vcc_lo, v15, v4
	v_add_co_ci_u32_e32 v11, vcc_lo, v16, v5, vcc_lo
	s_delay_alu instid0(VALU_DEP_4)
	v_add_co_u32 v12, vcc_lo, v19, v12
	v_add_co_ci_u32_e32 v13, vcc_lo, v20, v13, vcc_lo
	v_add_co_u32 v14, vcc_lo, v21, v2
	v_add_co_ci_u32_e32 v15, vcc_lo, v23, v3, vcc_lo
	s_mov_b32 s0, 0
.LBB16_4:                               ; =>This Loop Header: Depth=1
                                        ;     Child Loop BB16_5 Depth 2
	s_mul_i32 s1, s28, s11
	s_mul_hi_u32 s2, s28, s10
	s_mul_i32 s3, s28, s19
	s_mul_hi_u32 s6, s28, s18
	s_add_i32 s1, s2, s1
	s_add_i32 s2, s6, s3
	s_mul_i32 s3, s29, s18
	s_mul_i32 s6, s28, s25
	s_add_i32 s3, s2, s3
	s_mul_hi_u32 s7, s28, s24
	s_mul_i32 s2, s28, s18
	s_add_i32 s6, s7, s6
	s_mul_i32 s7, s29, s24
	s_lshl_b64 s[2:3], s[2:3], 2
	s_add_i32 s7, s6, s7
	s_mul_i32 s6, s28, s24
	v_add_co_u32 v2, vcc_lo, v7, s2
	v_add_co_ci_u32_e32 v3, vcc_lo, s3, v9, vcc_lo
	s_lshl_b64 s[2:3], s[6:7], 2
	s_mul_i32 s8, s29, s10
	v_add_co_u32 v4, vcc_lo, v14, s2
	v_add_co_ci_u32_e32 v5, vcc_lo, s3, v15, vcc_lo
	s_add_i32 s3, s1, s8
	s_mul_i32 s2, s28, s10
	global_load_b32 v16, v[2:3], off
	global_load_b32 v4, v[4:5], off
	s_lshl_b64 s[2:3], s[2:3], 2
	s_mul_i32 s1, s28, s5
	v_add_co_u32 v2, vcc_lo, v10, s2
	v_add_co_ci_u32_e32 v3, vcc_lo, s3, v11, vcc_lo
	s_mul_hi_u32 s2, s28, s4
	s_mul_i32 s3, s29, s4
	s_add_i32 s1, s2, s1
	global_load_b32 v17, v[2:3], off
	s_mul_i32 s2, s28, s4
	s_add_i32 s3, s1, s3
	s_mov_b32 s1, 0
	s_lshl_b64 s[2:3], s[2:3], 2
	s_delay_alu instid0(SALU_CYCLE_1) | instskip(SKIP_4) | instid1(VALU_DEP_1)
	v_add_co_u32 v2, vcc_lo, v12, s2
	v_add_co_ci_u32_e32 v3, vcc_lo, s3, v13, vcc_lo
	global_load_b32 v5, v[2:3], off
	s_waitcnt vmcnt(2)
	v_add_f32_e32 v4, v16, v4
	v_add_f32_e32 v4, v8, v4
	s_waitcnt vmcnt(1)
	s_delay_alu instid0(VALU_DEP_1) | instskip(NEXT) | instid1(VALU_DEP_1)
	v_sub_f32_e32 v4, v4, v17
	v_mul_f32_e32 v16, 0x3fb8aa3b, v4
	v_cmp_ngt_f32_e32 vcc_lo, 0xc2ce8ed0, v4
	s_delay_alu instid0(VALU_DEP_2) | instskip(SKIP_1) | instid1(VALU_DEP_1)
	v_fma_f32 v17, 0x3fb8aa3b, v4, -v16
	v_rndne_f32_e32 v18, v16
	v_dual_fmac_f32 v17, 0x32a5705f, v4 :: v_dual_sub_f32 v16, v16, v18
	s_delay_alu instid0(VALU_DEP_1) | instskip(SKIP_1) | instid1(VALU_DEP_2)
	v_add_f32_e32 v16, v16, v17
	v_cvt_i32_f32_e32 v17, v18
	v_exp_f32_e32 v16, v16
	s_waitcnt_depctr 0xfff
	v_ldexp_f32 v16, v16, v17
	s_delay_alu instid0(VALU_DEP_1) | instskip(SKIP_1) | instid1(VALU_DEP_2)
	v_cndmask_b32_e32 v16, 0, v16, vcc_lo
	v_cmp_nlt_f32_e32 vcc_lo, 0x42b17218, v4
	v_cndmask_b32_e32 v4, 0x7f800000, v16, vcc_lo
	s_delay_alu instid0(VALU_DEP_1)
	v_mul_f32_e64 v16, v6, -v4
.LBB16_5:                               ;   Parent Loop BB16_4 Depth=1
                                        ; =>  This Inner Loop Header: Depth=2
	s_waitcnt vmcnt(0)
	s_delay_alu instid0(VALU_DEP_1)
	v_add_f32_e32 v4, v5, v16
	global_atomic_cmpswap_b32 v4, v[2:3], v[4:5], off glc
	s_waitcnt vmcnt(0)
	v_cmp_eq_u32_e32 vcc_lo, v4, v5
	v_mov_b32_e32 v5, v4
	s_or_b32 s1, vcc_lo, s1
	s_delay_alu instid0(SALU_CYCLE_1)
	s_and_not1_b32 exec_lo, exec_lo, s1
	s_cbranch_execnz .LBB16_5
; %bb.6:                                ;   in Loop: Header=BB16_4 Depth=1
	s_or_b32 exec_lo, exec_lo, s1
	s_add_u32 s28, s28, 1
	s_addc_u32 s29, s29, 0
	s_delay_alu instid0(SALU_CYCLE_1) | instskip(SKIP_1) | instid1(SALU_CYCLE_1)
	v_cmp_eq_u64_e32 vcc_lo, s[28:29], v[0:1]
	s_or_b32 s0, vcc_lo, s0
	s_and_not1_b32 exec_lo, exec_lo, s0
	s_cbranch_execnz .LBB16_4
.LBB16_7:
	s_endpgm
	.section	.rodata,"a",@progbits
	.p2align	6, 0x0
	.amdhsa_kernel _ZN2at6native12_GLOBAL__N_145ctc_loss_backward_collect_nonblank_gpu_kernelIfiEEvPT_PKS3_lS6_S6_S6_PKlPKT0_S8_S6_llllllllllllS8_llb
		.amdhsa_group_segment_fixed_size 0
		.amdhsa_private_segment_fixed_size 0
		.amdhsa_kernarg_size 464
		.amdhsa_user_sgpr_count 14
		.amdhsa_user_sgpr_dispatch_ptr 0
		.amdhsa_user_sgpr_queue_ptr 0
		.amdhsa_user_sgpr_kernarg_segment_ptr 1
		.amdhsa_user_sgpr_dispatch_id 0
		.amdhsa_user_sgpr_private_segment_size 0
		.amdhsa_wavefront_size32 1
		.amdhsa_uses_dynamic_stack 0
		.amdhsa_enable_private_segment 0
		.amdhsa_system_sgpr_workgroup_id_x 1
		.amdhsa_system_sgpr_workgroup_id_y 1
		.amdhsa_system_sgpr_workgroup_id_z 0
		.amdhsa_system_sgpr_workgroup_info 0
		.amdhsa_system_vgpr_workitem_id 1
		.amdhsa_next_free_vgpr 27
		.amdhsa_next_free_sgpr 44
		.amdhsa_reserve_vcc 1
		.amdhsa_float_round_mode_32 0
		.amdhsa_float_round_mode_16_64 0
		.amdhsa_float_denorm_mode_32 3
		.amdhsa_float_denorm_mode_16_64 3
		.amdhsa_dx10_clamp 1
		.amdhsa_ieee_mode 1
		.amdhsa_fp16_overflow 0
		.amdhsa_workgroup_processor_mode 1
		.amdhsa_memory_ordered 1
		.amdhsa_forward_progress 0
		.amdhsa_shared_vgpr_count 0
		.amdhsa_exception_fp_ieee_invalid_op 0
		.amdhsa_exception_fp_denorm_src 0
		.amdhsa_exception_fp_ieee_div_zero 0
		.amdhsa_exception_fp_ieee_overflow 0
		.amdhsa_exception_fp_ieee_underflow 0
		.amdhsa_exception_fp_ieee_inexact 0
		.amdhsa_exception_int_div_zero 0
	.end_amdhsa_kernel
	.section	.text._ZN2at6native12_GLOBAL__N_145ctc_loss_backward_collect_nonblank_gpu_kernelIfiEEvPT_PKS3_lS6_S6_S6_PKlPKT0_S8_S6_llllllllllllS8_llb,"axG",@progbits,_ZN2at6native12_GLOBAL__N_145ctc_loss_backward_collect_nonblank_gpu_kernelIfiEEvPT_PKS3_lS6_S6_S6_PKlPKT0_S8_S6_llllllllllllS8_llb,comdat
.Lfunc_end16:
	.size	_ZN2at6native12_GLOBAL__N_145ctc_loss_backward_collect_nonblank_gpu_kernelIfiEEvPT_PKS3_lS6_S6_S6_PKlPKT0_S8_S6_llllllllllllS8_llb, .Lfunc_end16-_ZN2at6native12_GLOBAL__N_145ctc_loss_backward_collect_nonblank_gpu_kernelIfiEEvPT_PKS3_lS6_S6_S6_PKlPKT0_S8_S6_llllllllllllS8_llb
                                        ; -- End function
	.section	.AMDGPU.csdata,"",@progbits
; Kernel info:
; codeLenInByte = 1416
; NumSgprs: 46
; NumVgprs: 27
; ScratchSize: 0
; MemoryBound: 0
; FloatMode: 240
; IeeeMode: 1
; LDSByteSize: 0 bytes/workgroup (compile time only)
; SGPRBlocks: 5
; VGPRBlocks: 3
; NumSGPRsForWavesPerEU: 46
; NumVGPRsForWavesPerEU: 27
; Occupancy: 16
; WaveLimiterHint : 1
; COMPUTE_PGM_RSRC2:SCRATCH_EN: 0
; COMPUTE_PGM_RSRC2:USER_SGPR: 14
; COMPUTE_PGM_RSRC2:TRAP_HANDLER: 0
; COMPUTE_PGM_RSRC2:TGID_X_EN: 1
; COMPUTE_PGM_RSRC2:TGID_Y_EN: 1
; COMPUTE_PGM_RSRC2:TGID_Z_EN: 0
; COMPUTE_PGM_RSRC2:TIDIG_COMP_CNT: 1
	.section	.text._ZN2at6native12_GLOBAL__N_136ctc_loss_backward_collect_gpu_kernelIfiEEvPT_PKS3_lS6_S6_S6_PKllPKT0_S8_lS6_llllllllllllS8_llllb,"axG",@progbits,_ZN2at6native12_GLOBAL__N_136ctc_loss_backward_collect_gpu_kernelIfiEEvPT_PKS3_lS6_S6_S6_PKllPKT0_S8_lS6_llllllllllllS8_llllb,comdat
	.globl	_ZN2at6native12_GLOBAL__N_136ctc_loss_backward_collect_gpu_kernelIfiEEvPT_PKS3_lS6_S6_S6_PKllPKT0_S8_lS6_llllllllllllS8_llllb ; -- Begin function _ZN2at6native12_GLOBAL__N_136ctc_loss_backward_collect_gpu_kernelIfiEEvPT_PKS3_lS6_S6_S6_PKllPKT0_S8_lS6_llllllllllllS8_llllb
	.p2align	8
	.type	_ZN2at6native12_GLOBAL__N_136ctc_loss_backward_collect_gpu_kernelIfiEEvPT_PKS3_lS6_S6_S6_PKllPKT0_S8_lS6_llllllllllllS8_llllb,@function
_ZN2at6native12_GLOBAL__N_136ctc_loss_backward_collect_gpu_kernelIfiEEvPT_PKS3_lS6_S6_S6_PKllPKT0_S8_lS6_llllllllllllS8_llllb: ; @_ZN2at6native12_GLOBAL__N_136ctc_loss_backward_collect_gpu_kernelIfiEEvPT_PKS3_lS6_S6_S6_PKllPKT0_S8_lS6_llllllllllllS8_llllb
; %bb.0:
	s_load_b32 s4, s[0:1], 0xfc
	v_bfe_u32 v1, v0, 10, 10
	s_clause 0x1
	s_load_b64 s[2:3], s[0:1], 0x38
	s_load_b256 s[20:27], s[0:1], 0xc8
	v_and_b32_e32 v4, 0x3ff, v0
	s_waitcnt lgkmcnt(0)
	s_lshr_b32 s5, s4, 16
	s_and_b32 s4, s4, 0xffff
	v_mad_u64_u32 v[2:3], null, s15, s5, v[1:2]
	v_mov_b32_e32 v3, 0
	s_delay_alu instid0(VALU_DEP_1) | instskip(NEXT) | instid1(VALU_DEP_1)
	v_mov_b32_e32 v5, v3
	v_mad_u64_u32 v[0:1], null, s4, s14, v[4:5]
	s_delay_alu instid0(VALU_DEP_1) | instskip(SKIP_1) | instid1(VALU_DEP_1)
	v_cmp_gt_i64_e32 vcc_lo, s[2:3], v[0:1]
	v_cmp_gt_i64_e64 s2, s[22:23], v[2:3]
	s_and_b32 s2, vcc_lo, s2
	s_delay_alu instid0(SALU_CYCLE_1)
	s_and_saveexec_b32 s3, s2
	s_cbranch_execz .LBB17_15
; %bb.1:
	s_clause 0x1
	s_load_b64 s[4:5], s[0:1], 0x30
	s_load_b64 s[2:3], s[0:1], 0x50
	v_lshlrev_b64 v[8:9], 3, v[2:3]
	s_load_b64 s[22:23], s[0:1], 0x0
	s_waitcnt lgkmcnt(0)
	s_delay_alu instid0(VALU_DEP_1) | instskip(NEXT) | instid1(VALU_DEP_2)
	v_add_co_u32 v4, vcc_lo, s4, v8
	v_add_co_ci_u32_e32 v5, vcc_lo, s5, v9, vcc_lo
	s_load_b512 s[4:19], s[0:1], 0x60
	global_load_b64 v[4:5], v[4:5], off
	s_waitcnt lgkmcnt(0)
	v_mad_u64_u32 v[6:7], null, v2, s6, 0
	v_cmp_lt_i64_e64 s6, s[2:3], 0
	v_mul_lo_u32 v16, v1, s4
	v_mul_lo_u32 v17, v0, s5
	s_delay_alu instid0(VALU_DEP_3) | instskip(NEXT) | instid1(VALU_DEP_4)
	s_and_b32 vcc_lo, exec_lo, s6
	v_mad_u64_u32 v[10:11], null, v2, s7, v[7:8]
	s_mov_b64 s[6:7], 0
	s_delay_alu instid0(VALU_DEP_1) | instskip(NEXT) | instid1(VALU_DEP_1)
	v_mov_b32_e32 v7, v10
	v_lshlrev_b64 v[6:7], 2, v[6:7]
	s_cbranch_vccnz .LBB17_10
; %bb.2:
	s_clause 0x3
	s_load_b64 s[34:35], s[0:1], 0xc0
	s_load_b128 s[28:31], s[0:1], 0x40
	s_load_b128 s[44:47], s[0:1], 0x18
	s_load_b256 s[36:43], s[0:1], 0xa0
	v_mul_lo_u32 v24, v1, s18
	v_mul_lo_u32 v25, v0, s19
	v_mad_u64_u32 v[14:15], null, v0, s18, 0
	v_mad_u64_u32 v[18:19], null, v0, s4, 0
	s_lshl_b64 s[18:19], s[2:3], 1
	s_mov_b32 s3, 0
	s_delay_alu instid0(VALU_DEP_2) | instskip(NEXT) | instid1(VALU_DEP_2)
	v_add3_u32 v15, v15, v25, v24
	v_add3_u32 v19, v19, v17, v16
	s_delay_alu instid0(VALU_DEP_2)
	v_lshlrev_b64 v[14:15], 2, v[14:15]
	s_waitcnt lgkmcnt(0)
	v_add_co_u32 v10, vcc_lo, s34, v8
	v_add_co_ci_u32_e32 v11, vcc_lo, s35, v9, vcc_lo
	v_add_co_u32 v8, vcc_lo, s30, v8
	v_add_co_ci_u32_e32 v9, vcc_lo, s31, v9, vcc_lo
	v_mad_u64_u32 v[20:21], null, v2, s38, 0
	global_load_b64 v[10:11], v[10:11], off
	global_load_b64 v[12:13], v[8:9], off
	v_mad_u64_u32 v[8:9], null, v2, s16, 0
	v_mul_lo_u32 v28, v1, s40
	v_mul_lo_u32 v29, v0, s41
	s_waitcnt vmcnt(1)
	s_delay_alu instid0(VALU_DEP_3) | instskip(SKIP_4) | instid1(VALU_DEP_3)
	v_mad_u64_u32 v[22:23], null, v2, s17, v[9:10]
	v_mad_u64_u32 v[23:24], null, v0, s40, 0
	s_waitcnt vmcnt(0)
	v_lshlrev_b64 v[12:13], 1, v[12:13]
	s_lshl_b64 s[16:17], s[36:37], 2
	v_mov_b32_e32 v9, v22
	v_mad_u64_u32 v[25:26], null, v2, s39, v[21:22]
	v_add_co_u32 v22, vcc_lo, s22, v6
	s_delay_alu instid0(VALU_DEP_3)
	v_lshlrev_b64 v[8:9], 2, v[8:9]
	v_add_co_ci_u32_e32 v30, vcc_lo, s23, v7, vcc_lo
	v_add3_u32 v24, v24, v29, v28
	v_mov_b32_e32 v21, v25
	v_lshlrev_b64 v[26:27], 2, v[18:19]
	v_add_co_u32 v8, vcc_lo, s44, v8
	v_add_co_ci_u32_e32 v9, vcc_lo, s45, v9, vcc_lo
	s_delay_alu instid0(VALU_DEP_4) | instskip(NEXT) | instid1(VALU_DEP_3)
	v_lshlrev_b64 v[20:21], 2, v[20:21]
	v_add_co_u32 v8, vcc_lo, v8, v14
	v_lshlrev_b64 v[18:19], 2, v[23:24]
	s_delay_alu instid0(VALU_DEP_4) | instskip(NEXT) | instid1(VALU_DEP_4)
	v_add_co_ci_u32_e32 v9, vcc_lo, v9, v15, vcc_lo
	v_add_co_u32 v20, vcc_lo, s46, v20
	v_add_co_ci_u32_e32 v21, vcc_lo, s47, v21, vcc_lo
	v_lshlrev_b64 v[14:15], 2, v[10:11]
	s_delay_alu instid0(VALU_DEP_3) | instskip(NEXT) | instid1(VALU_DEP_3)
	v_add_co_u32 v10, vcc_lo, v20, v18
	v_add_co_ci_u32_e32 v11, vcc_lo, v21, v19, vcc_lo
	s_delay_alu instid0(VALU_DEP_3) | instskip(NEXT) | instid1(VALU_DEP_4)
	v_add_co_u32 v18, vcc_lo, s28, v14
	v_add_co_ci_u32_e32 v19, vcc_lo, s29, v15, vcc_lo
	v_add_co_u32 v20, vcc_lo, v22, v26
	v_add_co_ci_u32_e32 v21, vcc_lo, v30, v27, vcc_lo
	s_lshl_b64 s[28:29], s[42:43], 2
	s_branch .LBB17_5
.LBB17_3:                               ;   in Loop: Header=BB17_5 Depth=1
	s_or_b32 exec_lo, exec_lo, s30
	global_store_b32 v[14:15], v22, off
.LBB17_4:                               ;   in Loop: Header=BB17_5 Depth=1
	s_or_b32 exec_lo, exec_lo, s5
	s_add_u32 s6, s6, 1
	s_addc_u32 s7, s7, 0
	v_add_co_u32 v8, vcc_lo, v8, s16
	v_cmp_lt_i64_e64 s2, s[18:19], s[6:7]
	v_add_co_ci_u32_e32 v9, vcc_lo, s17, v9, vcc_lo
	v_add_co_u32 v10, vcc_lo, v10, s28
	v_add_co_ci_u32_e32 v11, vcc_lo, s29, v11, vcc_lo
	s_delay_alu instid0(VALU_DEP_4)
	s_and_b32 vcc_lo, exec_lo, s2
	s_cbranch_vccnz .LBB17_10
.LBB17_5:                               ; =>This Inner Loop Header: Depth=1
	s_mov_b32 s5, exec_lo
	v_cmpx_le_i64_e64 s[6:7], v[12:13]
	s_cbranch_execz .LBB17_4
; %bb.6:                                ;   in Loop: Header=BB17_5 Depth=1
	v_dual_mov_b32 v14, s26 :: v_dual_mov_b32 v15, s27
	s_and_b32 s2, s6, 1
	s_delay_alu instid0(SALU_CYCLE_1)
	s_cmp_eq_u64 s[2:3], 0
	s_cbranch_scc1 .LBB17_8
; %bb.7:                                ;   in Loop: Header=BB17_5 Depth=1
	v_alignbit_b32 v14, s7, s6, 1
	s_lshr_b32 s2, s7, 1
	s_delay_alu instid0(SALU_CYCLE_1) | instskip(NEXT) | instid1(VALU_DEP_1)
	s_mul_i32 s2, s2, s20
	v_mul_lo_u32 v15, v14, s21
	v_mul_hi_u32 v22, v14, s20
	v_mul_lo_u32 v14, v14, s20
	s_delay_alu instid0(VALU_DEP_2) | instskip(NEXT) | instid1(VALU_DEP_1)
	v_add_nc_u32_e32 v15, v22, v15
	v_add_nc_u32_e32 v15, s2, v15
	s_delay_alu instid0(VALU_DEP_1) | instskip(NEXT) | instid1(VALU_DEP_1)
	v_lshlrev_b64 v[14:15], 2, v[14:15]
	v_add_co_u32 v14, vcc_lo, v18, v14
	s_delay_alu instid0(VALU_DEP_2)
	v_add_co_ci_u32_e32 v15, vcc_lo, v19, v15, vcc_lo
	global_load_b32 v14, v[14:15], off
	s_waitcnt vmcnt(0)
	v_ashrrev_i32_e32 v15, 31, v14
.LBB17_8:                               ;   in Loop: Header=BB17_5 Depth=1
	s_delay_alu instid0(VALU_DEP_1) | instskip(SKIP_3) | instid1(VALU_DEP_1)
	v_mul_lo_u32 v15, v15, s8
	v_mul_lo_u32 v24, v14, s9
	v_mad_u64_u32 v[22:23], null, v14, s8, 0
	s_mov_b32 s30, exec_lo
	v_add3_u32 v23, v23, v24, v15
	s_delay_alu instid0(VALU_DEP_1) | instskip(NEXT) | instid1(VALU_DEP_1)
	v_lshlrev_b64 v[14:15], 2, v[22:23]
	v_add_co_u32 v14, vcc_lo, v20, v14
	s_delay_alu instid0(VALU_DEP_2)
	v_add_co_ci_u32_e32 v15, vcc_lo, v21, v15, vcc_lo
	global_load_b32 v22, v[8:9], off
	global_load_b32 v24, v[10:11], off
	;; [unrolled: 1-line block ×3, first 2 shown]
	s_waitcnt vmcnt(1)
	v_add_f32_e32 v22, v22, v24
	s_waitcnt vmcnt(0)
	v_cmpx_neq_f32_e32 0xff800000, v23
	s_cbranch_execz .LBB17_3
; %bb.9:                                ;   in Loop: Header=BB17_5 Depth=1
	s_delay_alu instid0(VALU_DEP_2) | instskip(SKIP_1) | instid1(VALU_DEP_1)
	v_cmp_gt_f32_e32 vcc_lo, v23, v22
	v_cndmask_b32_e32 v24, v22, v23, vcc_lo
	v_sub_f32_e32 v23, v23, v24
	s_delay_alu instid0(VALU_DEP_1) | instskip(NEXT) | instid1(VALU_DEP_1)
	v_mul_f32_e32 v25, 0x3fb8aa3b, v23
	v_rndne_f32_e32 v28, v25
	v_fma_f32 v27, 0x3fb8aa3b, v23, -v25
	s_delay_alu instid0(VALU_DEP_2) | instskip(SKIP_1) | instid1(VALU_DEP_1)
	v_sub_f32_e32 v25, v25, v28
	v_sub_f32_e32 v22, v22, v24
	v_mul_f32_e32 v26, 0x3fb8aa3b, v22
	s_delay_alu instid0(VALU_DEP_4) | instskip(SKIP_1) | instid1(VALU_DEP_3)
	v_fmac_f32_e32 v27, 0x32a5705f, v23
	v_cmp_ngt_f32_e32 vcc_lo, 0xc2ce8ed0, v23
	v_fma_f32 v29, 0x3fb8aa3b, v22, -v26
	v_rndne_f32_e32 v30, v26
	s_delay_alu instid0(VALU_DEP_2) | instskip(NEXT) | instid1(VALU_DEP_2)
	v_fmac_f32_e32 v29, 0x32a5705f, v22
	v_dual_sub_f32 v26, v26, v30 :: v_dual_add_f32 v25, v25, v27
	v_cvt_i32_f32_e32 v27, v28
	v_cvt_i32_f32_e32 v28, v30
	s_delay_alu instid0(VALU_DEP_3) | instskip(NEXT) | instid1(VALU_DEP_4)
	v_add_f32_e32 v26, v26, v29
	v_exp_f32_e32 v25, v25
	s_delay_alu instid0(VALU_DEP_1) | instskip(SKIP_3) | instid1(VALU_DEP_2)
	v_exp_f32_e32 v26, v26
	s_waitcnt_depctr 0xfff
	v_ldexp_f32 v25, v25, v27
	v_ldexp_f32 v26, v26, v28
	v_cndmask_b32_e32 v25, 0, v25, vcc_lo
	v_cmp_ngt_f32_e32 vcc_lo, 0xc2ce8ed0, v22
	s_delay_alu instid0(VALU_DEP_3) | instskip(SKIP_1) | instid1(VALU_DEP_4)
	v_cndmask_b32_e32 v26, 0, v26, vcc_lo
	v_cmp_nlt_f32_e32 vcc_lo, 0x42b17218, v23
	v_cndmask_b32_e32 v23, 0x7f800000, v25, vcc_lo
	v_cmp_nlt_f32_e32 vcc_lo, 0x42b17218, v22
	s_delay_alu instid0(VALU_DEP_4) | instskip(NEXT) | instid1(VALU_DEP_1)
	v_cndmask_b32_e32 v22, 0x7f800000, v26, vcc_lo
	v_add_f32_e32 v22, v23, v22
	s_delay_alu instid0(VALU_DEP_1) | instskip(SKIP_1) | instid1(VALU_DEP_1)
	v_cmp_gt_f32_e32 vcc_lo, 0x800000, v22
	v_cndmask_b32_e64 v23, 1.0, 0x4f800000, vcc_lo
	v_mul_f32_e32 v22, v22, v23
	s_delay_alu instid0(VALU_DEP_1) | instskip(SKIP_3) | instid1(VALU_DEP_2)
	v_log_f32_e32 v22, v22
	s_waitcnt_depctr 0xfff
	v_mul_f32_e32 v23, 0x3f317217, v22
	v_cmp_gt_f32_e64 s2, 0x7f800000, |v22|
	v_fma_f32 v25, 0x3f317217, v22, -v23
	s_delay_alu instid0(VALU_DEP_1) | instskip(NEXT) | instid1(VALU_DEP_1)
	v_fmac_f32_e32 v25, 0x3377d1cf, v22
	v_add_f32_e32 v23, v23, v25
	s_delay_alu instid0(VALU_DEP_1) | instskip(SKIP_1) | instid1(VALU_DEP_1)
	v_cndmask_b32_e64 v22, v22, v23, s2
	v_cndmask_b32_e64 v23, 0, 0x41b17218, vcc_lo
	v_sub_f32_e32 v22, v22, v23
	s_delay_alu instid0(VALU_DEP_1)
	v_add_f32_e32 v22, v24, v22
	s_branch .LBB17_3
.LBB17_10:
	v_cmp_lt_i64_e64 s2, s[24:25], 1
	s_delay_alu instid0(VALU_DEP_1)
	s_and_b32 vcc_lo, exec_lo, s2
	s_cbranch_vccnz .LBB17_15
; %bb.11:
	s_clause 0x3
	s_load_b128 s[16:19], s[0:1], 0x8
	s_load_b64 s[2:3], s[0:1], 0x58
	s_load_b64 s[6:7], s[0:1], 0x28
	s_load_b32 s0, s[0:1], 0xe8
	v_mul_lo_u32 v18, v0, s11
	s_waitcnt lgkmcnt(0)
	v_mad_u64_u32 v[9:10], null, v2, s18, 0
	s_bitcmp1_b32 s0, 0
	s_cselect_b32 s0, -1, 0
	s_delay_alu instid0(VALU_DEP_1) | instskip(SKIP_1) | instid1(VALU_DEP_2)
	v_mov_b32_e32 v8, v10
	v_lshlrev_b64 v[10:11], 2, v[2:3]
	v_mad_u64_u32 v[12:13], null, v2, s19, v[8:9]
	s_delay_alu instid0(VALU_DEP_2) | instskip(NEXT) | instid1(VALU_DEP_3)
	v_add_co_u32 v13, vcc_lo, s2, v10
	v_add_co_ci_u32_e32 v14, vcc_lo, s3, v11, vcc_lo
	s_xor_b32 s2, s0, -1
	s_delay_alu instid0(VALU_DEP_3) | instskip(SKIP_3) | instid1(VALU_DEP_2)
	v_mov_b32_e32 v10, v12
	global_load_b32 v8, v[13:14], off
	v_mad_u64_u32 v[12:13], null, v0, s4, 0
	v_lshlrev_b64 v[9:10], 2, v[9:10]
	v_add3_u32 v13, v13, v17, v16
	s_delay_alu instid0(VALU_DEP_2) | instskip(NEXT) | instid1(VALU_DEP_3)
	v_add_co_u32 v9, vcc_lo, s16, v9
	v_add_co_ci_u32_e32 v10, vcc_lo, s17, v10, vcc_lo
	v_mul_lo_u32 v17, v1, s10
	global_load_b32 v9, v[9:10], off
	v_mad_u64_u32 v[10:11], null, v2, s12, 0
	s_delay_alu instid0(VALU_DEP_1) | instskip(SKIP_1) | instid1(VALU_DEP_1)
	v_mov_b32_e32 v3, v11
	s_waitcnt vmcnt(2)
	v_mad_u64_u32 v[14:15], null, v2, s13, v[3:4]
	v_mad_u64_u32 v[15:16], null, v0, s10, 0
	v_lshlrev_b64 v[2:3], 2, v[12:13]
	v_add_co_u32 v12, vcc_lo, s22, v6
	v_add_co_ci_u32_e32 v13, vcc_lo, s23, v7, vcc_lo
	v_mov_b32_e32 v11, v14
	v_add3_u32 v16, v16, v18, v17
	s_delay_alu instid0(VALU_DEP_4) | instskip(NEXT) | instid1(VALU_DEP_4)
	v_add_co_u32 v2, vcc_lo, v12, v2
	v_add_co_ci_u32_e32 v3, vcc_lo, v13, v3, vcc_lo
	s_delay_alu instid0(VALU_DEP_4) | instskip(SKIP_2) | instid1(VALU_DEP_3)
	v_lshlrev_b64 v[6:7], 2, v[10:11]
	v_cmp_lt_i64_e32 vcc_lo, v[0:1], v[4:5]
	v_lshlrev_b64 v[0:1], 2, v[15:16]
	v_add_co_u32 v4, s1, s6, v6
	s_delay_alu instid0(VALU_DEP_1) | instskip(SKIP_2) | instid1(VALU_DEP_1)
	v_add_co_ci_u32_e64 v5, s1, s7, v7, s1
	s_waitcnt vmcnt(1)
	v_cmp_neq_f32_e64 s0, 0x7f800000, v8
	s_or_b32 s1, s2, s0
	v_add_co_u32 v0, s0, v4, v0
	s_delay_alu instid0(VALU_DEP_1)
	v_add_co_ci_u32_e64 v1, s0, v5, v1, s0
	s_and_b32 s4, vcc_lo, s1
	s_lshl_b64 s[0:1], s[14:15], 2
	s_lshl_b64 s[2:3], s[8:9], 2
	s_branch .LBB17_13
.LBB17_12:                              ;   in Loop: Header=BB17_13 Depth=1
	s_or_b32 exec_lo, exec_lo, s5
	v_add_co_u32 v0, vcc_lo, v0, s0
	v_add_co_ci_u32_e32 v1, vcc_lo, s1, v1, vcc_lo
	global_store_b32 v[2:3], v4, off
	v_add_co_u32 v2, vcc_lo, v2, s2
	s_add_u32 s24, s24, -1
	v_add_co_ci_u32_e32 v3, vcc_lo, s3, v3, vcc_lo
	s_addc_u32 s25, s25, -1
	s_delay_alu instid0(SALU_CYCLE_1)
	s_cmp_lg_u64 s[24:25], 0
	s_cbranch_scc0 .LBB17_15
.LBB17_13:                              ; =>This Inner Loop Header: Depth=1
	v_mov_b32_e32 v4, 0
	s_and_saveexec_b32 s5, s4
	s_cbranch_execz .LBB17_12
; %bb.14:                               ;   in Loop: Header=BB17_13 Depth=1
	global_load_b32 v4, v[2:3], off
	global_load_b32 v5, v[0:1], off
	s_waitcnt vmcnt(0)
	v_mul_f32_e32 v6, 0x3fb8aa3b, v5
	v_cmp_ngt_f32_e32 vcc_lo, 0xc2ce8ed0, v5
	s_delay_alu instid0(VALU_DEP_2) | instskip(NEXT) | instid1(VALU_DEP_1)
	v_fma_f32 v11, 0x3fb8aa3b, v5, -v6
	v_dual_add_f32 v4, v8, v4 :: v_dual_fmac_f32 v11, 0x32a5705f, v5
	s_delay_alu instid0(VALU_DEP_1) | instskip(NEXT) | instid1(VALU_DEP_1)
	v_sub_f32_e32 v4, v4, v5
	v_mul_f32_e32 v7, 0x3fb8aa3b, v4
	v_rndne_f32_e32 v10, v6
	s_delay_alu instid0(VALU_DEP_2) | instskip(SKIP_1) | instid1(VALU_DEP_3)
	v_fma_f32 v12, 0x3fb8aa3b, v4, -v7
	v_rndne_f32_e32 v13, v7
	v_sub_f32_e32 v6, v6, v10
	v_cvt_i32_f32_e32 v10, v10
	s_delay_alu instid0(VALU_DEP_3) | instskip(NEXT) | instid1(VALU_DEP_3)
	v_dual_fmac_f32 v12, 0x32a5705f, v4 :: v_dual_sub_f32 v7, v7, v13
	v_add_f32_e32 v6, v6, v11
	v_cvt_i32_f32_e32 v11, v13
	s_delay_alu instid0(VALU_DEP_3) | instskip(NEXT) | instid1(VALU_DEP_3)
	v_add_f32_e32 v7, v7, v12
	v_exp_f32_e32 v6, v6
	s_delay_alu instid0(VALU_DEP_1) | instskip(SKIP_3) | instid1(VALU_DEP_2)
	v_exp_f32_e32 v7, v7
	s_waitcnt_depctr 0xfff
	v_ldexp_f32 v6, v6, v10
	v_ldexp_f32 v7, v7, v11
	v_cndmask_b32_e32 v6, 0, v6, vcc_lo
	v_cmp_ngt_f32_e32 vcc_lo, 0xc2ce8ed0, v4
	s_delay_alu instid0(VALU_DEP_3) | instskip(SKIP_1) | instid1(VALU_DEP_4)
	v_cndmask_b32_e32 v7, 0, v7, vcc_lo
	v_cmp_nlt_f32_e32 vcc_lo, 0x42b17218, v5
	v_cndmask_b32_e32 v5, 0x7f800000, v6, vcc_lo
	v_cmp_nlt_f32_e32 vcc_lo, 0x42b17218, v4
	s_delay_alu instid0(VALU_DEP_4) | instskip(NEXT) | instid1(VALU_DEP_1)
	v_cndmask_b32_e32 v4, 0x7f800000, v7, vcc_lo
	v_sub_f32_e32 v4, v5, v4
	s_delay_alu instid0(VALU_DEP_1)
	v_mul_f32_e32 v4, v9, v4
	s_branch .LBB17_12
.LBB17_15:
	s_nop 0
	s_sendmsg sendmsg(MSG_DEALLOC_VGPRS)
	s_endpgm
	.section	.rodata,"a",@progbits
	.p2align	6, 0x0
	.amdhsa_kernel _ZN2at6native12_GLOBAL__N_136ctc_loss_backward_collect_gpu_kernelIfiEEvPT_PKS3_lS6_S6_S6_PKllPKT0_S8_lS6_llllllllllllS8_llllb
		.amdhsa_group_segment_fixed_size 0
		.amdhsa_private_segment_fixed_size 0
		.amdhsa_kernarg_size 496
		.amdhsa_user_sgpr_count 14
		.amdhsa_user_sgpr_dispatch_ptr 0
		.amdhsa_user_sgpr_queue_ptr 0
		.amdhsa_user_sgpr_kernarg_segment_ptr 1
		.amdhsa_user_sgpr_dispatch_id 0
		.amdhsa_user_sgpr_private_segment_size 0
		.amdhsa_wavefront_size32 1
		.amdhsa_uses_dynamic_stack 0
		.amdhsa_enable_private_segment 0
		.amdhsa_system_sgpr_workgroup_id_x 1
		.amdhsa_system_sgpr_workgroup_id_y 1
		.amdhsa_system_sgpr_workgroup_id_z 0
		.amdhsa_system_sgpr_workgroup_info 0
		.amdhsa_system_vgpr_workitem_id 1
		.amdhsa_next_free_vgpr 31
		.amdhsa_next_free_sgpr 48
		.amdhsa_reserve_vcc 1
		.amdhsa_float_round_mode_32 0
		.amdhsa_float_round_mode_16_64 0
		.amdhsa_float_denorm_mode_32 3
		.amdhsa_float_denorm_mode_16_64 3
		.amdhsa_dx10_clamp 1
		.amdhsa_ieee_mode 1
		.amdhsa_fp16_overflow 0
		.amdhsa_workgroup_processor_mode 1
		.amdhsa_memory_ordered 1
		.amdhsa_forward_progress 0
		.amdhsa_shared_vgpr_count 0
		.amdhsa_exception_fp_ieee_invalid_op 0
		.amdhsa_exception_fp_denorm_src 0
		.amdhsa_exception_fp_ieee_div_zero 0
		.amdhsa_exception_fp_ieee_overflow 0
		.amdhsa_exception_fp_ieee_underflow 0
		.amdhsa_exception_fp_ieee_inexact 0
		.amdhsa_exception_int_div_zero 0
	.end_amdhsa_kernel
	.section	.text._ZN2at6native12_GLOBAL__N_136ctc_loss_backward_collect_gpu_kernelIfiEEvPT_PKS3_lS6_S6_S6_PKllPKT0_S8_lS6_llllllllllllS8_llllb,"axG",@progbits,_ZN2at6native12_GLOBAL__N_136ctc_loss_backward_collect_gpu_kernelIfiEEvPT_PKS3_lS6_S6_S6_PKllPKT0_S8_lS6_llllllllllllS8_llllb,comdat
.Lfunc_end17:
	.size	_ZN2at6native12_GLOBAL__N_136ctc_loss_backward_collect_gpu_kernelIfiEEvPT_PKS3_lS6_S6_S6_PKllPKT0_S8_lS6_llllllllllllS8_llllb, .Lfunc_end17-_ZN2at6native12_GLOBAL__N_136ctc_loss_backward_collect_gpu_kernelIfiEEvPT_PKS3_lS6_S6_S6_PKllPKT0_S8_lS6_llllllllllllS8_llllb
                                        ; -- End function
	.section	.AMDGPU.csdata,"",@progbits
; Kernel info:
; codeLenInByte = 2060
; NumSgprs: 50
; NumVgprs: 31
; ScratchSize: 0
; MemoryBound: 0
; FloatMode: 240
; IeeeMode: 1
; LDSByteSize: 0 bytes/workgroup (compile time only)
; SGPRBlocks: 6
; VGPRBlocks: 3
; NumSGPRsForWavesPerEU: 50
; NumVGPRsForWavesPerEU: 31
; Occupancy: 16
; WaveLimiterHint : 1
; COMPUTE_PGM_RSRC2:SCRATCH_EN: 0
; COMPUTE_PGM_RSRC2:USER_SGPR: 14
; COMPUTE_PGM_RSRC2:TRAP_HANDLER: 0
; COMPUTE_PGM_RSRC2:TGID_X_EN: 1
; COMPUTE_PGM_RSRC2:TGID_Y_EN: 1
; COMPUTE_PGM_RSRC2:TGID_Z_EN: 0
; COMPUTE_PGM_RSRC2:TIDIG_COMP_CNT: 1
	.text
	.p2alignl 7, 3214868480
	.fill 96, 4, 3214868480
	.type	__hip_cuid_fc0d42db336b73da,@object ; @__hip_cuid_fc0d42db336b73da
	.section	.bss,"aw",@nobits
	.globl	__hip_cuid_fc0d42db336b73da
__hip_cuid_fc0d42db336b73da:
	.byte	0                               ; 0x0
	.size	__hip_cuid_fc0d42db336b73da, 1

	.ident	"AMD clang version 19.0.0git (https://github.com/RadeonOpenCompute/llvm-project roc-6.4.0 25133 c7fe45cf4b819c5991fe208aaa96edf142730f1d)"
	.section	".note.GNU-stack","",@progbits
	.addrsig
	.addrsig_sym __hip_cuid_fc0d42db336b73da
	.amdgpu_metadata
---
amdhsa.kernels:
  - .args:
      - .address_space:  global
        .offset:         0
        .size:           8
        .value_kind:     global_buffer
      - .address_space:  global
        .offset:         8
        .size:           8
        .value_kind:     global_buffer
      - .actual_access:  read_only
        .address_space:  global
        .offset:         16
        .size:           8
        .value_kind:     global_buffer
      - .offset:         24
        .size:           8
        .value_kind:     by_value
      - .actual_access:  read_only
        .address_space:  global
        .offset:         32
        .size:           8
        .value_kind:     global_buffer
      - .actual_access:  read_only
        .address_space:  global
        .offset:         40
        .size:           8
        .value_kind:     global_buffer
      - .offset:         48
        .size:           8
        .value_kind:     by_value
      - .actual_access:  write_only
        .address_space:  global
        .offset:         56
        .size:           8
        .value_kind:     global_buffer
      - .offset:         64
        .size:           8
        .value_kind:     by_value
      - .offset:         72
        .size:           8
        .value_kind:     by_value
      - .offset:         80
        .size:           8
        .value_kind:     by_value
      - .offset:         88
        .size:           8
        .value_kind:     by_value
      - .offset:         96
        .size:           8
        .value_kind:     by_value
      - .offset:         104
        .size:           8
        .value_kind:     by_value
      - .actual_access:  read_only
        .address_space:  global
        .offset:         112
        .size:           8
        .value_kind:     global_buffer
      - .offset:         120
        .size:           8
        .value_kind:     by_value
      - .offset:         128
        .size:           8
        .value_kind:     by_value
      - .offset:         136
        .size:           8
        .value_kind:     by_value
      - .offset:         144
        .size:           4
        .value_kind:     hidden_block_count_x
      - .offset:         148
        .size:           4
        .value_kind:     hidden_block_count_y
      - .offset:         152
        .size:           4
        .value_kind:     hidden_block_count_z
      - .offset:         156
        .size:           2
        .value_kind:     hidden_group_size_x
      - .offset:         158
        .size:           2
        .value_kind:     hidden_group_size_y
      - .offset:         160
        .size:           2
        .value_kind:     hidden_group_size_z
      - .offset:         162
        .size:           2
        .value_kind:     hidden_remainder_x
      - .offset:         164
        .size:           2
        .value_kind:     hidden_remainder_y
      - .offset:         166
        .size:           2
        .value_kind:     hidden_remainder_z
      - .offset:         184
        .size:           8
        .value_kind:     hidden_global_offset_x
      - .offset:         192
        .size:           8
        .value_kind:     hidden_global_offset_y
      - .offset:         200
        .size:           8
        .value_kind:     hidden_global_offset_z
      - .offset:         208
        .size:           2
        .value_kind:     hidden_grid_dims
    .group_segment_fixed_size: 0
    .kernarg_segment_align: 8
    .kernarg_segment_size: 400
    .language:       OpenCL C
    .language_version:
      - 2
      - 0
    .max_flat_workgroup_size: 896
    .name:           _ZN2at6native12_GLOBAL__N_129ctc_loss_log_alpha_gpu_kernelIdlEEvPT_PKS3_PKllPKT0_S8_lS4_llllllS8_lll
    .private_segment_fixed_size: 0
    .sgpr_count:     92
    .sgpr_spill_count: 0
    .symbol:         _ZN2at6native12_GLOBAL__N_129ctc_loss_log_alpha_gpu_kernelIdlEEvPT_PKS3_PKllPKT0_S8_lS4_llllllS8_lll.kd
    .uniform_work_group_size: 1
    .uses_dynamic_stack: false
    .vgpr_count:     61
    .vgpr_spill_count: 0
    .wavefront_size: 32
    .workgroup_processor_mode: 1
  - .args:
      - .address_space:  global
        .offset:         0
        .size:           8
        .value_kind:     global_buffer
      - .address_space:  global
        .offset:         8
        .size:           8
        .value_kind:     global_buffer
      - .actual_access:  read_only
        .address_space:  global
        .offset:         16
        .size:           8
        .value_kind:     global_buffer
      - .offset:         24
        .size:           8
        .value_kind:     by_value
      - .actual_access:  read_only
        .address_space:  global
        .offset:         32
        .size:           8
        .value_kind:     global_buffer
      - .actual_access:  read_only
        .address_space:  global
        .offset:         40
        .size:           8
        .value_kind:     global_buffer
      - .offset:         48
        .size:           8
        .value_kind:     by_value
      - .actual_access:  write_only
        .address_space:  global
        .offset:         56
        .size:           8
        .value_kind:     global_buffer
      - .offset:         64
        .size:           8
        .value_kind:     by_value
      - .offset:         72
        .size:           8
        .value_kind:     by_value
      - .offset:         80
        .size:           8
        .value_kind:     by_value
      - .offset:         88
        .size:           8
        .value_kind:     by_value
      - .offset:         96
        .size:           8
        .value_kind:     by_value
      - .offset:         104
        .size:           8
        .value_kind:     by_value
      - .actual_access:  read_only
        .address_space:  global
        .offset:         112
        .size:           8
        .value_kind:     global_buffer
      - .offset:         120
        .size:           8
        .value_kind:     by_value
      - .offset:         128
        .size:           8
        .value_kind:     by_value
      - .offset:         136
        .size:           8
        .value_kind:     by_value
      - .offset:         144
        .size:           4
        .value_kind:     hidden_block_count_x
      - .offset:         148
        .size:           4
        .value_kind:     hidden_block_count_y
      - .offset:         152
        .size:           4
        .value_kind:     hidden_block_count_z
      - .offset:         156
        .size:           2
        .value_kind:     hidden_group_size_x
      - .offset:         158
        .size:           2
        .value_kind:     hidden_group_size_y
      - .offset:         160
        .size:           2
        .value_kind:     hidden_group_size_z
      - .offset:         162
        .size:           2
        .value_kind:     hidden_remainder_x
      - .offset:         164
        .size:           2
        .value_kind:     hidden_remainder_y
      - .offset:         166
        .size:           2
        .value_kind:     hidden_remainder_z
      - .offset:         184
        .size:           8
        .value_kind:     hidden_global_offset_x
      - .offset:         192
        .size:           8
        .value_kind:     hidden_global_offset_y
      - .offset:         200
        .size:           8
        .value_kind:     hidden_global_offset_z
      - .offset:         208
        .size:           2
        .value_kind:     hidden_grid_dims
    .group_segment_fixed_size: 0
    .kernarg_segment_align: 8
    .kernarg_segment_size: 400
    .language:       OpenCL C
    .language_version:
      - 2
      - 0
    .max_flat_workgroup_size: 896
    .name:           _ZN2at6native12_GLOBAL__N_129ctc_loss_log_alpha_gpu_kernelIdiEEvPT_PKS3_PKllPKT0_S8_lS4_llllllS8_lll
    .private_segment_fixed_size: 0
    .sgpr_count:     92
    .sgpr_spill_count: 0
    .symbol:         _ZN2at6native12_GLOBAL__N_129ctc_loss_log_alpha_gpu_kernelIdiEEvPT_PKS3_PKllPKT0_S8_lS4_llllllS8_lll.kd
    .uniform_work_group_size: 1
    .uses_dynamic_stack: false
    .vgpr_count:     61
    .vgpr_spill_count: 0
    .wavefront_size: 32
    .workgroup_processor_mode: 1
  - .args:
      - .address_space:  global
        .offset:         0
        .size:           8
        .value_kind:     global_buffer
      - .address_space:  global
        .offset:         8
        .size:           8
        .value_kind:     global_buffer
      - .actual_access:  read_only
        .address_space:  global
        .offset:         16
        .size:           8
        .value_kind:     global_buffer
      - .offset:         24
        .size:           8
        .value_kind:     by_value
      - .actual_access:  read_only
        .address_space:  global
        .offset:         32
        .size:           8
        .value_kind:     global_buffer
      - .actual_access:  read_only
        .address_space:  global
        .offset:         40
        .size:           8
        .value_kind:     global_buffer
      - .offset:         48
        .size:           8
        .value_kind:     by_value
      - .actual_access:  write_only
        .address_space:  global
        .offset:         56
        .size:           8
        .value_kind:     global_buffer
      - .offset:         64
        .size:           8
        .value_kind:     by_value
      - .offset:         72
        .size:           8
        .value_kind:     by_value
      - .offset:         80
        .size:           8
        .value_kind:     by_value
      - .offset:         88
        .size:           8
        .value_kind:     by_value
      - .offset:         96
        .size:           8
        .value_kind:     by_value
      - .offset:         104
        .size:           8
        .value_kind:     by_value
      - .actual_access:  read_only
        .address_space:  global
        .offset:         112
        .size:           8
        .value_kind:     global_buffer
      - .offset:         120
        .size:           8
        .value_kind:     by_value
      - .offset:         128
        .size:           8
        .value_kind:     by_value
      - .offset:         136
        .size:           8
        .value_kind:     by_value
      - .offset:         144
        .size:           4
        .value_kind:     hidden_block_count_x
      - .offset:         148
        .size:           4
        .value_kind:     hidden_block_count_y
      - .offset:         152
        .size:           4
        .value_kind:     hidden_block_count_z
      - .offset:         156
        .size:           2
        .value_kind:     hidden_group_size_x
      - .offset:         158
        .size:           2
        .value_kind:     hidden_group_size_y
      - .offset:         160
        .size:           2
        .value_kind:     hidden_group_size_z
      - .offset:         162
        .size:           2
        .value_kind:     hidden_remainder_x
      - .offset:         164
        .size:           2
        .value_kind:     hidden_remainder_y
      - .offset:         166
        .size:           2
        .value_kind:     hidden_remainder_z
      - .offset:         184
        .size:           8
        .value_kind:     hidden_global_offset_x
      - .offset:         192
        .size:           8
        .value_kind:     hidden_global_offset_y
      - .offset:         200
        .size:           8
        .value_kind:     hidden_global_offset_z
      - .offset:         208
        .size:           2
        .value_kind:     hidden_grid_dims
    .group_segment_fixed_size: 0
    .kernarg_segment_align: 8
    .kernarg_segment_size: 400
    .language:       OpenCL C
    .language_version:
      - 2
      - 0
    .max_flat_workgroup_size: 1024
    .name:           _ZN2at6native12_GLOBAL__N_129ctc_loss_log_alpha_gpu_kernelIflEEvPT_PKS3_PKllPKT0_S8_lS4_llllllS8_lll
    .private_segment_fixed_size: 0
    .sgpr_count:     43
    .sgpr_spill_count: 0
    .symbol:         _ZN2at6native12_GLOBAL__N_129ctc_loss_log_alpha_gpu_kernelIflEEvPT_PKS3_PKllPKT0_S8_lS4_llllllS8_lll.kd
    .uniform_work_group_size: 1
    .uses_dynamic_stack: false
    .vgpr_count:     47
    .vgpr_spill_count: 0
    .wavefront_size: 32
    .workgroup_processor_mode: 1
  - .args:
      - .address_space:  global
        .offset:         0
        .size:           8
        .value_kind:     global_buffer
      - .address_space:  global
        .offset:         8
        .size:           8
        .value_kind:     global_buffer
      - .actual_access:  read_only
        .address_space:  global
        .offset:         16
        .size:           8
        .value_kind:     global_buffer
      - .offset:         24
        .size:           8
        .value_kind:     by_value
      - .actual_access:  read_only
        .address_space:  global
        .offset:         32
        .size:           8
        .value_kind:     global_buffer
      - .actual_access:  read_only
        .address_space:  global
        .offset:         40
        .size:           8
        .value_kind:     global_buffer
      - .offset:         48
        .size:           8
        .value_kind:     by_value
      - .actual_access:  write_only
        .address_space:  global
        .offset:         56
        .size:           8
        .value_kind:     global_buffer
      - .offset:         64
        .size:           8
        .value_kind:     by_value
      - .offset:         72
        .size:           8
        .value_kind:     by_value
      - .offset:         80
        .size:           8
        .value_kind:     by_value
      - .offset:         88
        .size:           8
        .value_kind:     by_value
      - .offset:         96
        .size:           8
        .value_kind:     by_value
      - .offset:         104
        .size:           8
        .value_kind:     by_value
      - .actual_access:  read_only
        .address_space:  global
        .offset:         112
        .size:           8
        .value_kind:     global_buffer
      - .offset:         120
        .size:           8
        .value_kind:     by_value
      - .offset:         128
        .size:           8
        .value_kind:     by_value
      - .offset:         136
        .size:           8
        .value_kind:     by_value
      - .offset:         144
        .size:           4
        .value_kind:     hidden_block_count_x
      - .offset:         148
        .size:           4
        .value_kind:     hidden_block_count_y
      - .offset:         152
        .size:           4
        .value_kind:     hidden_block_count_z
      - .offset:         156
        .size:           2
        .value_kind:     hidden_group_size_x
      - .offset:         158
        .size:           2
        .value_kind:     hidden_group_size_y
      - .offset:         160
        .size:           2
        .value_kind:     hidden_group_size_z
      - .offset:         162
        .size:           2
        .value_kind:     hidden_remainder_x
      - .offset:         164
        .size:           2
        .value_kind:     hidden_remainder_y
      - .offset:         166
        .size:           2
        .value_kind:     hidden_remainder_z
      - .offset:         184
        .size:           8
        .value_kind:     hidden_global_offset_x
      - .offset:         192
        .size:           8
        .value_kind:     hidden_global_offset_y
      - .offset:         200
        .size:           8
        .value_kind:     hidden_global_offset_z
      - .offset:         208
        .size:           2
        .value_kind:     hidden_grid_dims
    .group_segment_fixed_size: 0
    .kernarg_segment_align: 8
    .kernarg_segment_size: 400
    .language:       OpenCL C
    .language_version:
      - 2
      - 0
    .max_flat_workgroup_size: 1024
    .name:           _ZN2at6native12_GLOBAL__N_129ctc_loss_log_alpha_gpu_kernelIfiEEvPT_PKS3_PKllPKT0_S8_lS4_llllllS8_lll
    .private_segment_fixed_size: 0
    .sgpr_count:     43
    .sgpr_spill_count: 0
    .symbol:         _ZN2at6native12_GLOBAL__N_129ctc_loss_log_alpha_gpu_kernelIfiEEvPT_PKS3_PKllPKT0_S8_lS4_llllllS8_lll.kd
    .uniform_work_group_size: 1
    .uses_dynamic_stack: false
    .vgpr_count:     47
    .vgpr_spill_count: 0
    .wavefront_size: 32
    .workgroup_processor_mode: 1
  - .args:
      - .address_space:  global
        .offset:         0
        .size:           8
        .value_kind:     global_buffer
      - .address_space:  global
        .offset:         8
        .size:           8
        .value_kind:     global_buffer
      - .actual_access:  read_only
        .address_space:  global
        .offset:         16
        .size:           8
        .value_kind:     global_buffer
      - .offset:         24
        .size:           8
        .value_kind:     by_value
      - .actual_access:  read_only
        .address_space:  global
        .offset:         32
        .size:           8
        .value_kind:     global_buffer
      - .actual_access:  read_only
        .address_space:  global
        .offset:         40
        .size:           8
        .value_kind:     global_buffer
      - .offset:         48
        .size:           8
        .value_kind:     by_value
      - .offset:         56
        .size:           8
        .value_kind:     by_value
      - .offset:         64
        .size:           8
        .value_kind:     by_value
      - .offset:         72
        .size:           8
        .value_kind:     by_value
      - .offset:         80
        .size:           8
        .value_kind:     by_value
      - .offset:         88
        .size:           8
        .value_kind:     by_value
      - .offset:         96
        .size:           8
        .value_kind:     by_value
      - .actual_access:  read_only
        .address_space:  global
        .offset:         104
        .size:           8
        .value_kind:     global_buffer
      - .offset:         112
        .size:           8
        .value_kind:     by_value
      - .offset:         120
        .size:           8
        .value_kind:     by_value
      - .offset:         128
        .size:           8
        .value_kind:     by_value
      - .offset:         136
        .size:           4
        .value_kind:     hidden_block_count_x
      - .offset:         140
        .size:           4
        .value_kind:     hidden_block_count_y
      - .offset:         144
        .size:           4
        .value_kind:     hidden_block_count_z
      - .offset:         148
        .size:           2
        .value_kind:     hidden_group_size_x
      - .offset:         150
        .size:           2
        .value_kind:     hidden_group_size_y
      - .offset:         152
        .size:           2
        .value_kind:     hidden_group_size_z
      - .offset:         154
        .size:           2
        .value_kind:     hidden_remainder_x
      - .offset:         156
        .size:           2
        .value_kind:     hidden_remainder_y
      - .offset:         158
        .size:           2
        .value_kind:     hidden_remainder_z
      - .offset:         176
        .size:           8
        .value_kind:     hidden_global_offset_x
      - .offset:         184
        .size:           8
        .value_kind:     hidden_global_offset_y
      - .offset:         192
        .size:           8
        .value_kind:     hidden_global_offset_z
      - .offset:         200
        .size:           2
        .value_kind:     hidden_grid_dims
    .group_segment_fixed_size: 0
    .kernarg_segment_align: 8
    .kernarg_segment_size: 392
    .language:       OpenCL C
    .language_version:
      - 2
      - 0
    .max_flat_workgroup_size: 896
    .name:           _ZN2at6native12_GLOBAL__N_137ctc_loss_backward_log_beta_gpu_kernelIdlEEvPT_PKS3_PKllPKT0_S8_lllllllS8_lll
    .private_segment_fixed_size: 0
    .sgpr_count:     84
    .sgpr_spill_count: 0
    .symbol:         _ZN2at6native12_GLOBAL__N_137ctc_loss_backward_log_beta_gpu_kernelIdlEEvPT_PKS3_PKllPKT0_S8_lllllllS8_lll.kd
    .uniform_work_group_size: 1
    .uses_dynamic_stack: false
    .vgpr_count:     63
    .vgpr_spill_count: 0
    .wavefront_size: 32
    .workgroup_processor_mode: 1
  - .args:
      - .address_space:  global
        .offset:         0
        .size:           8
        .value_kind:     global_buffer
      - .actual_access:  read_only
        .address_space:  global
        .offset:         8
        .size:           8
        .value_kind:     global_buffer
      - .offset:         16
        .size:           8
        .value_kind:     by_value
      - .actual_access:  read_only
        .address_space:  global
        .offset:         24
        .size:           8
        .value_kind:     global_buffer
      - .actual_access:  read_only
        .address_space:  global
        .offset:         32
        .size:           8
        .value_kind:     global_buffer
      - .address_space:  global
        .offset:         40
        .size:           8
        .value_kind:     global_buffer
      - .actual_access:  read_only
        .address_space:  global
        .offset:         48
        .size:           8
        .value_kind:     global_buffer
      - .actual_access:  read_only
        .address_space:  global
        .offset:         56
        .size:           8
        .value_kind:     global_buffer
      - .actual_access:  read_only
        .address_space:  global
        .offset:         64
        .size:           8
        .value_kind:     global_buffer
      - .actual_access:  read_only
        .address_space:  global
        .offset:         72
        .size:           8
        .value_kind:     global_buffer
      - .offset:         80
        .size:           8
        .value_kind:     by_value
      - .offset:         88
        .size:           8
        .value_kind:     by_value
      - .offset:         96
        .size:           8
        .value_kind:     by_value
      - .offset:         104
        .size:           8
        .value_kind:     by_value
      - .offset:         112
        .size:           8
        .value_kind:     by_value
      - .offset:         120
        .size:           8
        .value_kind:     by_value
      - .offset:         128
        .size:           8
        .value_kind:     by_value
      - .offset:         136
        .size:           8
        .value_kind:     by_value
      - .offset:         144
        .size:           8
        .value_kind:     by_value
      - .offset:         152
        .size:           8
        .value_kind:     by_value
      - .offset:         160
        .size:           8
        .value_kind:     by_value
      - .offset:         168
        .size:           8
        .value_kind:     by_value
      - .actual_access:  read_only
        .address_space:  global
        .offset:         176
        .size:           8
        .value_kind:     global_buffer
      - .offset:         184
        .size:           8
        .value_kind:     by_value
      - .offset:         192
        .size:           8
        .value_kind:     by_value
      - .offset:         200
        .size:           1
        .value_kind:     by_value
      - .offset:         208
        .size:           4
        .value_kind:     hidden_block_count_x
      - .offset:         212
        .size:           4
        .value_kind:     hidden_block_count_y
      - .offset:         216
        .size:           4
        .value_kind:     hidden_block_count_z
      - .offset:         220
        .size:           2
        .value_kind:     hidden_group_size_x
      - .offset:         222
        .size:           2
        .value_kind:     hidden_group_size_y
      - .offset:         224
        .size:           2
        .value_kind:     hidden_group_size_z
      - .offset:         226
        .size:           2
        .value_kind:     hidden_remainder_x
      - .offset:         228
        .size:           2
        .value_kind:     hidden_remainder_y
      - .offset:         230
        .size:           2
        .value_kind:     hidden_remainder_z
      - .offset:         248
        .size:           8
        .value_kind:     hidden_global_offset_x
      - .offset:         256
        .size:           8
        .value_kind:     hidden_global_offset_y
      - .offset:         264
        .size:           8
        .value_kind:     hidden_global_offset_z
      - .offset:         272
        .size:           2
        .value_kind:     hidden_grid_dims
    .group_segment_fixed_size: 0
    .kernarg_segment_align: 8
    .kernarg_segment_size: 464
    .language:       OpenCL C
    .language_version:
      - 2
      - 0
    .max_flat_workgroup_size: 896
    .name:           _ZN2at6native12_GLOBAL__N_145ctc_loss_backward_collect_nonblank_gpu_kernelIdlEEvPT_PKS3_lS6_S6_S6_PKlPKT0_S8_S6_llllllllllllS8_llb
    .private_segment_fixed_size: 0
    .sgpr_count:     64
    .sgpr_spill_count: 0
    .symbol:         _ZN2at6native12_GLOBAL__N_145ctc_loss_backward_collect_nonblank_gpu_kernelIdlEEvPT_PKS3_lS6_S6_S6_PKlPKT0_S8_S6_llllllllllllS8_llb.kd
    .uniform_work_group_size: 1
    .uses_dynamic_stack: false
    .vgpr_count:     29
    .vgpr_spill_count: 0
    .wavefront_size: 32
    .workgroup_processor_mode: 1
  - .args:
      - .address_space:  global
        .offset:         0
        .size:           8
        .value_kind:     global_buffer
      - .actual_access:  read_only
        .address_space:  global
        .offset:         8
        .size:           8
        .value_kind:     global_buffer
      - .offset:         16
        .size:           8
        .value_kind:     by_value
      - .actual_access:  read_only
        .address_space:  global
        .offset:         24
        .size:           8
        .value_kind:     global_buffer
      - .actual_access:  read_only
        .address_space:  global
        .offset:         32
        .size:           8
        .value_kind:     global_buffer
      - .address_space:  global
        .offset:         40
        .size:           8
        .value_kind:     global_buffer
      - .actual_access:  read_only
        .address_space:  global
        .offset:         48
        .size:           8
        .value_kind:     global_buffer
      - .offset:         56
        .size:           8
        .value_kind:     by_value
      - .actual_access:  read_only
        .address_space:  global
        .offset:         64
        .size:           8
        .value_kind:     global_buffer
      - .actual_access:  read_only
        .address_space:  global
        .offset:         72
        .size:           8
        .value_kind:     global_buffer
      - .offset:         80
        .size:           8
        .value_kind:     by_value
      - .actual_access:  read_only
        .address_space:  global
        .offset:         88
        .size:           8
        .value_kind:     global_buffer
      - .offset:         96
        .size:           8
        .value_kind:     by_value
      - .offset:         104
        .size:           8
        .value_kind:     by_value
      - .offset:         112
        .size:           8
        .value_kind:     by_value
      - .offset:         120
        .size:           8
        .value_kind:     by_value
      - .offset:         128
        .size:           8
        .value_kind:     by_value
      - .offset:         136
        .size:           8
        .value_kind:     by_value
      - .offset:         144
        .size:           8
        .value_kind:     by_value
      - .offset:         152
        .size:           8
        .value_kind:     by_value
      - .offset:         160
        .size:           8
        .value_kind:     by_value
      - .offset:         168
        .size:           8
        .value_kind:     by_value
      - .offset:         176
        .size:           8
        .value_kind:     by_value
      - .offset:         184
        .size:           8
        .value_kind:     by_value
      - .actual_access:  read_only
        .address_space:  global
        .offset:         192
        .size:           8
        .value_kind:     global_buffer
      - .offset:         200
        .size:           8
        .value_kind:     by_value
      - .offset:         208
        .size:           8
        .value_kind:     by_value
      - .offset:         216
        .size:           8
        .value_kind:     by_value
      - .offset:         224
        .size:           8
        .value_kind:     by_value
      - .offset:         232
        .size:           1
        .value_kind:     by_value
      - .offset:         240
        .size:           4
        .value_kind:     hidden_block_count_x
      - .offset:         244
        .size:           4
        .value_kind:     hidden_block_count_y
      - .offset:         248
        .size:           4
        .value_kind:     hidden_block_count_z
      - .offset:         252
        .size:           2
        .value_kind:     hidden_group_size_x
      - .offset:         254
        .size:           2
        .value_kind:     hidden_group_size_y
      - .offset:         256
        .size:           2
        .value_kind:     hidden_group_size_z
      - .offset:         258
        .size:           2
        .value_kind:     hidden_remainder_x
      - .offset:         260
        .size:           2
        .value_kind:     hidden_remainder_y
      - .offset:         262
        .size:           2
        .value_kind:     hidden_remainder_z
      - .offset:         280
        .size:           8
        .value_kind:     hidden_global_offset_x
      - .offset:         288
        .size:           8
        .value_kind:     hidden_global_offset_y
      - .offset:         296
        .size:           8
        .value_kind:     hidden_global_offset_z
      - .offset:         304
        .size:           2
        .value_kind:     hidden_grid_dims
    .group_segment_fixed_size: 0
    .kernarg_segment_align: 8
    .kernarg_segment_size: 496
    .language:       OpenCL C
    .language_version:
      - 2
      - 0
    .max_flat_workgroup_size: 896
    .name:           _ZN2at6native12_GLOBAL__N_136ctc_loss_backward_collect_gpu_kernelIdlEEvPT_PKS3_lS6_S6_S6_PKllPKT0_S8_lS6_llllllllllllS8_llllb
    .private_segment_fixed_size: 0
    .sgpr_count:     88
    .sgpr_spill_count: 0
    .symbol:         _ZN2at6native12_GLOBAL__N_136ctc_loss_backward_collect_gpu_kernelIdlEEvPT_PKS3_lS6_S6_S6_PKllPKT0_S8_lS6_llllllllllllS8_llllb.kd
    .uniform_work_group_size: 1
    .uses_dynamic_stack: false
    .vgpr_count:     47
    .vgpr_spill_count: 0
    .wavefront_size: 32
    .workgroup_processor_mode: 1
  - .args:
      - .actual_access:  write_only
        .address_space:  global
        .offset:         0
        .size:           8
        .value_kind:     global_buffer
      - .actual_access:  read_only
        .address_space:  global
        .offset:         8
        .size:           8
        .value_kind:     global_buffer
      - .offset:         16
        .size:           8
        .value_kind:     by_value
      - .offset:         24
        .size:           8
        .value_kind:     by_value
      - .offset:         32
        .size:           8
        .value_kind:     by_value
      - .offset:         40
        .size:           8
        .value_kind:     by_value
      - .offset:         48
        .size:           8
        .value_kind:     by_value
      - .offset:         56
        .size:           8
        .value_kind:     by_value
      - .offset:         64
        .size:           4
        .value_kind:     hidden_block_count_x
      - .offset:         68
        .size:           4
        .value_kind:     hidden_block_count_y
      - .offset:         72
        .size:           4
        .value_kind:     hidden_block_count_z
      - .offset:         76
        .size:           2
        .value_kind:     hidden_group_size_x
      - .offset:         78
        .size:           2
        .value_kind:     hidden_group_size_y
      - .offset:         80
        .size:           2
        .value_kind:     hidden_group_size_z
      - .offset:         82
        .size:           2
        .value_kind:     hidden_remainder_x
      - .offset:         84
        .size:           2
        .value_kind:     hidden_remainder_y
      - .offset:         86
        .size:           2
        .value_kind:     hidden_remainder_z
      - .offset:         104
        .size:           8
        .value_kind:     hidden_global_offset_x
      - .offset:         112
        .size:           8
        .value_kind:     hidden_global_offset_y
      - .offset:         120
        .size:           8
        .value_kind:     hidden_global_offset_z
      - .offset:         128
        .size:           2
        .value_kind:     hidden_grid_dims
    .group_segment_fixed_size: 0
    .kernarg_segment_align: 8
    .kernarg_segment_size: 320
    .language:       OpenCL C
    .language_version:
      - 2
      - 0
    .max_flat_workgroup_size: 896
    .name:           _ZN2at6native12_GLOBAL__N_130ctc_loss_zero_padded_gradientsIdEEvPT_PKlllllll
    .private_segment_fixed_size: 0
    .sgpr_count:     22
    .sgpr_spill_count: 0
    .symbol:         _ZN2at6native12_GLOBAL__N_130ctc_loss_zero_padded_gradientsIdEEvPT_PKlllllll.kd
    .uniform_work_group_size: 1
    .uses_dynamic_stack: false
    .vgpr_count:     14
    .vgpr_spill_count: 0
    .wavefront_size: 32
    .workgroup_processor_mode: 1
  - .args:
      - .address_space:  global
        .offset:         0
        .size:           8
        .value_kind:     global_buffer
      - .address_space:  global
        .offset:         8
        .size:           8
        .value_kind:     global_buffer
      - .actual_access:  read_only
        .address_space:  global
        .offset:         16
        .size:           8
        .value_kind:     global_buffer
      - .offset:         24
        .size:           8
        .value_kind:     by_value
      - .actual_access:  read_only
        .address_space:  global
        .offset:         32
        .size:           8
        .value_kind:     global_buffer
      - .actual_access:  read_only
        .address_space:  global
        .offset:         40
        .size:           8
        .value_kind:     global_buffer
      - .offset:         48
        .size:           8
        .value_kind:     by_value
      - .offset:         56
        .size:           8
        .value_kind:     by_value
      - .offset:         64
        .size:           8
        .value_kind:     by_value
      - .offset:         72
        .size:           8
        .value_kind:     by_value
      - .offset:         80
        .size:           8
        .value_kind:     by_value
      - .offset:         88
        .size:           8
        .value_kind:     by_value
      - .offset:         96
        .size:           8
        .value_kind:     by_value
      - .actual_access:  read_only
        .address_space:  global
        .offset:         104
        .size:           8
        .value_kind:     global_buffer
      - .offset:         112
        .size:           8
        .value_kind:     by_value
      - .offset:         120
        .size:           8
        .value_kind:     by_value
      - .offset:         128
        .size:           8
        .value_kind:     by_value
      - .offset:         136
        .size:           4
        .value_kind:     hidden_block_count_x
      - .offset:         140
        .size:           4
        .value_kind:     hidden_block_count_y
      - .offset:         144
        .size:           4
        .value_kind:     hidden_block_count_z
      - .offset:         148
        .size:           2
        .value_kind:     hidden_group_size_x
      - .offset:         150
        .size:           2
        .value_kind:     hidden_group_size_y
      - .offset:         152
        .size:           2
        .value_kind:     hidden_group_size_z
      - .offset:         154
        .size:           2
        .value_kind:     hidden_remainder_x
      - .offset:         156
        .size:           2
        .value_kind:     hidden_remainder_y
      - .offset:         158
        .size:           2
        .value_kind:     hidden_remainder_z
      - .offset:         176
        .size:           8
        .value_kind:     hidden_global_offset_x
      - .offset:         184
        .size:           8
        .value_kind:     hidden_global_offset_y
      - .offset:         192
        .size:           8
        .value_kind:     hidden_global_offset_z
      - .offset:         200
        .size:           2
        .value_kind:     hidden_grid_dims
    .group_segment_fixed_size: 0
    .kernarg_segment_align: 8
    .kernarg_segment_size: 392
    .language:       OpenCL C
    .language_version:
      - 2
      - 0
    .max_flat_workgroup_size: 896
    .name:           _ZN2at6native12_GLOBAL__N_137ctc_loss_backward_log_beta_gpu_kernelIdiEEvPT_PKS3_PKllPKT0_S8_lllllllS8_lll
    .private_segment_fixed_size: 0
    .sgpr_count:     84
    .sgpr_spill_count: 0
    .symbol:         _ZN2at6native12_GLOBAL__N_137ctc_loss_backward_log_beta_gpu_kernelIdiEEvPT_PKS3_PKllPKT0_S8_lllllllS8_lll.kd
    .uniform_work_group_size: 1
    .uses_dynamic_stack: false
    .vgpr_count:     63
    .vgpr_spill_count: 0
    .wavefront_size: 32
    .workgroup_processor_mode: 1
  - .args:
      - .address_space:  global
        .offset:         0
        .size:           8
        .value_kind:     global_buffer
      - .actual_access:  read_only
        .address_space:  global
        .offset:         8
        .size:           8
        .value_kind:     global_buffer
      - .offset:         16
        .size:           8
        .value_kind:     by_value
      - .actual_access:  read_only
        .address_space:  global
        .offset:         24
        .size:           8
        .value_kind:     global_buffer
      - .actual_access:  read_only
        .address_space:  global
        .offset:         32
        .size:           8
        .value_kind:     global_buffer
      - .address_space:  global
        .offset:         40
        .size:           8
        .value_kind:     global_buffer
      - .actual_access:  read_only
        .address_space:  global
        .offset:         48
        .size:           8
        .value_kind:     global_buffer
      - .actual_access:  read_only
        .address_space:  global
        .offset:         56
        .size:           8
        .value_kind:     global_buffer
      - .actual_access:  read_only
        .address_space:  global
        .offset:         64
        .size:           8
        .value_kind:     global_buffer
      - .actual_access:  read_only
        .address_space:  global
        .offset:         72
        .size:           8
        .value_kind:     global_buffer
      - .offset:         80
        .size:           8
        .value_kind:     by_value
      - .offset:         88
        .size:           8
        .value_kind:     by_value
      - .offset:         96
        .size:           8
        .value_kind:     by_value
      - .offset:         104
        .size:           8
        .value_kind:     by_value
      - .offset:         112
        .size:           8
        .value_kind:     by_value
      - .offset:         120
        .size:           8
        .value_kind:     by_value
      - .offset:         128
        .size:           8
        .value_kind:     by_value
      - .offset:         136
        .size:           8
        .value_kind:     by_value
      - .offset:         144
        .size:           8
        .value_kind:     by_value
      - .offset:         152
        .size:           8
        .value_kind:     by_value
      - .offset:         160
        .size:           8
        .value_kind:     by_value
      - .offset:         168
        .size:           8
        .value_kind:     by_value
      - .actual_access:  read_only
        .address_space:  global
        .offset:         176
        .size:           8
        .value_kind:     global_buffer
      - .offset:         184
        .size:           8
        .value_kind:     by_value
      - .offset:         192
        .size:           8
        .value_kind:     by_value
      - .offset:         200
        .size:           1
        .value_kind:     by_value
      - .offset:         208
        .size:           4
        .value_kind:     hidden_block_count_x
      - .offset:         212
        .size:           4
        .value_kind:     hidden_block_count_y
      - .offset:         216
        .size:           4
        .value_kind:     hidden_block_count_z
      - .offset:         220
        .size:           2
        .value_kind:     hidden_group_size_x
      - .offset:         222
        .size:           2
        .value_kind:     hidden_group_size_y
      - .offset:         224
        .size:           2
        .value_kind:     hidden_group_size_z
      - .offset:         226
        .size:           2
        .value_kind:     hidden_remainder_x
      - .offset:         228
        .size:           2
        .value_kind:     hidden_remainder_y
      - .offset:         230
        .size:           2
        .value_kind:     hidden_remainder_z
      - .offset:         248
        .size:           8
        .value_kind:     hidden_global_offset_x
      - .offset:         256
        .size:           8
        .value_kind:     hidden_global_offset_y
      - .offset:         264
        .size:           8
        .value_kind:     hidden_global_offset_z
      - .offset:         272
        .size:           2
        .value_kind:     hidden_grid_dims
    .group_segment_fixed_size: 0
    .kernarg_segment_align: 8
    .kernarg_segment_size: 464
    .language:       OpenCL C
    .language_version:
      - 2
      - 0
    .max_flat_workgroup_size: 896
    .name:           _ZN2at6native12_GLOBAL__N_145ctc_loss_backward_collect_nonblank_gpu_kernelIdiEEvPT_PKS3_lS6_S6_S6_PKlPKT0_S8_S6_llllllllllllS8_llb
    .private_segment_fixed_size: 0
    .sgpr_count:     64
    .sgpr_spill_count: 0
    .symbol:         _ZN2at6native12_GLOBAL__N_145ctc_loss_backward_collect_nonblank_gpu_kernelIdiEEvPT_PKS3_lS6_S6_S6_PKlPKT0_S8_S6_llllllllllllS8_llb.kd
    .uniform_work_group_size: 1
    .uses_dynamic_stack: false
    .vgpr_count:     28
    .vgpr_spill_count: 0
    .wavefront_size: 32
    .workgroup_processor_mode: 1
  - .args:
      - .address_space:  global
        .offset:         0
        .size:           8
        .value_kind:     global_buffer
      - .actual_access:  read_only
        .address_space:  global
        .offset:         8
        .size:           8
        .value_kind:     global_buffer
      - .offset:         16
        .size:           8
        .value_kind:     by_value
      - .actual_access:  read_only
        .address_space:  global
        .offset:         24
        .size:           8
        .value_kind:     global_buffer
      - .actual_access:  read_only
        .address_space:  global
        .offset:         32
        .size:           8
        .value_kind:     global_buffer
      - .address_space:  global
        .offset:         40
        .size:           8
        .value_kind:     global_buffer
      - .actual_access:  read_only
        .address_space:  global
        .offset:         48
        .size:           8
        .value_kind:     global_buffer
      - .offset:         56
        .size:           8
        .value_kind:     by_value
      - .actual_access:  read_only
        .address_space:  global
        .offset:         64
        .size:           8
        .value_kind:     global_buffer
      - .actual_access:  read_only
        .address_space:  global
        .offset:         72
        .size:           8
        .value_kind:     global_buffer
      - .offset:         80
        .size:           8
        .value_kind:     by_value
      - .actual_access:  read_only
        .address_space:  global
        .offset:         88
        .size:           8
        .value_kind:     global_buffer
      - .offset:         96
        .size:           8
        .value_kind:     by_value
      - .offset:         104
        .size:           8
        .value_kind:     by_value
      - .offset:         112
        .size:           8
        .value_kind:     by_value
      - .offset:         120
        .size:           8
        .value_kind:     by_value
      - .offset:         128
        .size:           8
        .value_kind:     by_value
      - .offset:         136
        .size:           8
        .value_kind:     by_value
      - .offset:         144
        .size:           8
        .value_kind:     by_value
      - .offset:         152
        .size:           8
        .value_kind:     by_value
      - .offset:         160
        .size:           8
        .value_kind:     by_value
      - .offset:         168
        .size:           8
        .value_kind:     by_value
      - .offset:         176
        .size:           8
        .value_kind:     by_value
      - .offset:         184
        .size:           8
        .value_kind:     by_value
      - .actual_access:  read_only
        .address_space:  global
        .offset:         192
        .size:           8
        .value_kind:     global_buffer
      - .offset:         200
        .size:           8
        .value_kind:     by_value
      - .offset:         208
        .size:           8
        .value_kind:     by_value
      - .offset:         216
        .size:           8
        .value_kind:     by_value
      - .offset:         224
        .size:           8
        .value_kind:     by_value
      - .offset:         232
        .size:           1
        .value_kind:     by_value
      - .offset:         240
        .size:           4
        .value_kind:     hidden_block_count_x
      - .offset:         244
        .size:           4
        .value_kind:     hidden_block_count_y
      - .offset:         248
        .size:           4
        .value_kind:     hidden_block_count_z
      - .offset:         252
        .size:           2
        .value_kind:     hidden_group_size_x
      - .offset:         254
        .size:           2
        .value_kind:     hidden_group_size_y
      - .offset:         256
        .size:           2
        .value_kind:     hidden_group_size_z
      - .offset:         258
        .size:           2
        .value_kind:     hidden_remainder_x
      - .offset:         260
        .size:           2
        .value_kind:     hidden_remainder_y
      - .offset:         262
        .size:           2
        .value_kind:     hidden_remainder_z
      - .offset:         280
        .size:           8
        .value_kind:     hidden_global_offset_x
      - .offset:         288
        .size:           8
        .value_kind:     hidden_global_offset_y
      - .offset:         296
        .size:           8
        .value_kind:     hidden_global_offset_z
      - .offset:         304
        .size:           2
        .value_kind:     hidden_grid_dims
    .group_segment_fixed_size: 0
    .kernarg_segment_align: 8
    .kernarg_segment_size: 496
    .language:       OpenCL C
    .language_version:
      - 2
      - 0
    .max_flat_workgroup_size: 896
    .name:           _ZN2at6native12_GLOBAL__N_136ctc_loss_backward_collect_gpu_kernelIdiEEvPT_PKS3_lS6_S6_S6_PKllPKT0_S8_lS6_llllllllllllS8_llllb
    .private_segment_fixed_size: 0
    .sgpr_count:     88
    .sgpr_spill_count: 0
    .symbol:         _ZN2at6native12_GLOBAL__N_136ctc_loss_backward_collect_gpu_kernelIdiEEvPT_PKS3_lS6_S6_S6_PKllPKT0_S8_lS6_llllllllllllS8_llllb.kd
    .uniform_work_group_size: 1
    .uses_dynamic_stack: false
    .vgpr_count:     47
    .vgpr_spill_count: 0
    .wavefront_size: 32
    .workgroup_processor_mode: 1
  - .args:
      - .address_space:  global
        .offset:         0
        .size:           8
        .value_kind:     global_buffer
      - .address_space:  global
        .offset:         8
        .size:           8
        .value_kind:     global_buffer
      - .actual_access:  read_only
        .address_space:  global
        .offset:         16
        .size:           8
        .value_kind:     global_buffer
      - .offset:         24
        .size:           8
        .value_kind:     by_value
      - .actual_access:  read_only
        .address_space:  global
        .offset:         32
        .size:           8
        .value_kind:     global_buffer
      - .actual_access:  read_only
        .address_space:  global
        .offset:         40
        .size:           8
        .value_kind:     global_buffer
      - .offset:         48
        .size:           8
        .value_kind:     by_value
      - .offset:         56
        .size:           8
        .value_kind:     by_value
      - .offset:         64
        .size:           8
        .value_kind:     by_value
      - .offset:         72
        .size:           8
        .value_kind:     by_value
      - .offset:         80
        .size:           8
        .value_kind:     by_value
      - .offset:         88
        .size:           8
        .value_kind:     by_value
      - .offset:         96
        .size:           8
        .value_kind:     by_value
      - .actual_access:  read_only
        .address_space:  global
        .offset:         104
        .size:           8
        .value_kind:     global_buffer
      - .offset:         112
        .size:           8
        .value_kind:     by_value
      - .offset:         120
        .size:           8
        .value_kind:     by_value
      - .offset:         128
        .size:           8
        .value_kind:     by_value
      - .offset:         136
        .size:           4
        .value_kind:     hidden_block_count_x
      - .offset:         140
        .size:           4
        .value_kind:     hidden_block_count_y
      - .offset:         144
        .size:           4
        .value_kind:     hidden_block_count_z
      - .offset:         148
        .size:           2
        .value_kind:     hidden_group_size_x
      - .offset:         150
        .size:           2
        .value_kind:     hidden_group_size_y
      - .offset:         152
        .size:           2
        .value_kind:     hidden_group_size_z
      - .offset:         154
        .size:           2
        .value_kind:     hidden_remainder_x
      - .offset:         156
        .size:           2
        .value_kind:     hidden_remainder_y
      - .offset:         158
        .size:           2
        .value_kind:     hidden_remainder_z
      - .offset:         176
        .size:           8
        .value_kind:     hidden_global_offset_x
      - .offset:         184
        .size:           8
        .value_kind:     hidden_global_offset_y
      - .offset:         192
        .size:           8
        .value_kind:     hidden_global_offset_z
      - .offset:         200
        .size:           2
        .value_kind:     hidden_grid_dims
    .group_segment_fixed_size: 0
    .kernarg_segment_align: 8
    .kernarg_segment_size: 392
    .language:       OpenCL C
    .language_version:
      - 2
      - 0
    .max_flat_workgroup_size: 1024
    .name:           _ZN2at6native12_GLOBAL__N_137ctc_loss_backward_log_beta_gpu_kernelIflEEvPT_PKS3_PKllPKT0_S8_lllllllS8_lll
    .private_segment_fixed_size: 0
    .sgpr_count:     39
    .sgpr_spill_count: 0
    .symbol:         _ZN2at6native12_GLOBAL__N_137ctc_loss_backward_log_beta_gpu_kernelIflEEvPT_PKS3_PKllPKT0_S8_lllllllS8_lll.kd
    .uniform_work_group_size: 1
    .uses_dynamic_stack: false
    .vgpr_count:     49
    .vgpr_spill_count: 0
    .wavefront_size: 32
    .workgroup_processor_mode: 1
  - .args:
      - .address_space:  global
        .offset:         0
        .size:           8
        .value_kind:     global_buffer
      - .actual_access:  read_only
        .address_space:  global
        .offset:         8
        .size:           8
        .value_kind:     global_buffer
      - .offset:         16
        .size:           8
        .value_kind:     by_value
      - .actual_access:  read_only
        .address_space:  global
        .offset:         24
        .size:           8
        .value_kind:     global_buffer
      - .actual_access:  read_only
        .address_space:  global
        .offset:         32
        .size:           8
        .value_kind:     global_buffer
      - .address_space:  global
        .offset:         40
        .size:           8
        .value_kind:     global_buffer
      - .actual_access:  read_only
        .address_space:  global
        .offset:         48
        .size:           8
        .value_kind:     global_buffer
      - .actual_access:  read_only
        .address_space:  global
        .offset:         56
        .size:           8
        .value_kind:     global_buffer
      - .actual_access:  read_only
        .address_space:  global
        .offset:         64
        .size:           8
        .value_kind:     global_buffer
      - .actual_access:  read_only
        .address_space:  global
        .offset:         72
        .size:           8
        .value_kind:     global_buffer
      - .offset:         80
        .size:           8
        .value_kind:     by_value
      - .offset:         88
        .size:           8
        .value_kind:     by_value
      - .offset:         96
        .size:           8
        .value_kind:     by_value
      - .offset:         104
        .size:           8
        .value_kind:     by_value
      - .offset:         112
        .size:           8
        .value_kind:     by_value
      - .offset:         120
        .size:           8
        .value_kind:     by_value
      - .offset:         128
        .size:           8
        .value_kind:     by_value
      - .offset:         136
        .size:           8
        .value_kind:     by_value
      - .offset:         144
        .size:           8
        .value_kind:     by_value
      - .offset:         152
        .size:           8
        .value_kind:     by_value
      - .offset:         160
        .size:           8
        .value_kind:     by_value
      - .offset:         168
        .size:           8
        .value_kind:     by_value
      - .actual_access:  read_only
        .address_space:  global
        .offset:         176
        .size:           8
        .value_kind:     global_buffer
      - .offset:         184
        .size:           8
        .value_kind:     by_value
      - .offset:         192
        .size:           8
        .value_kind:     by_value
      - .offset:         200
        .size:           1
        .value_kind:     by_value
      - .offset:         208
        .size:           4
        .value_kind:     hidden_block_count_x
      - .offset:         212
        .size:           4
        .value_kind:     hidden_block_count_y
      - .offset:         216
        .size:           4
        .value_kind:     hidden_block_count_z
      - .offset:         220
        .size:           2
        .value_kind:     hidden_group_size_x
      - .offset:         222
        .size:           2
        .value_kind:     hidden_group_size_y
      - .offset:         224
        .size:           2
        .value_kind:     hidden_group_size_z
      - .offset:         226
        .size:           2
        .value_kind:     hidden_remainder_x
      - .offset:         228
        .size:           2
        .value_kind:     hidden_remainder_y
      - .offset:         230
        .size:           2
        .value_kind:     hidden_remainder_z
      - .offset:         248
        .size:           8
        .value_kind:     hidden_global_offset_x
      - .offset:         256
        .size:           8
        .value_kind:     hidden_global_offset_y
      - .offset:         264
        .size:           8
        .value_kind:     hidden_global_offset_z
      - .offset:         272
        .size:           2
        .value_kind:     hidden_grid_dims
    .group_segment_fixed_size: 0
    .kernarg_segment_align: 8
    .kernarg_segment_size: 464
    .language:       OpenCL C
    .language_version:
      - 2
      - 0
    .max_flat_workgroup_size: 1024
    .name:           _ZN2at6native12_GLOBAL__N_145ctc_loss_backward_collect_nonblank_gpu_kernelIflEEvPT_PKS3_lS6_S6_S6_PKlPKT0_S8_S6_llllllllllllS8_llb
    .private_segment_fixed_size: 0
    .sgpr_count:     46
    .sgpr_spill_count: 0
    .symbol:         _ZN2at6native12_GLOBAL__N_145ctc_loss_backward_collect_nonblank_gpu_kernelIflEEvPT_PKS3_lS6_S6_S6_PKlPKT0_S8_S6_llllllllllllS8_llb.kd
    .uniform_work_group_size: 1
    .uses_dynamic_stack: false
    .vgpr_count:     28
    .vgpr_spill_count: 0
    .wavefront_size: 32
    .workgroup_processor_mode: 1
  - .args:
      - .address_space:  global
        .offset:         0
        .size:           8
        .value_kind:     global_buffer
      - .actual_access:  read_only
        .address_space:  global
        .offset:         8
        .size:           8
        .value_kind:     global_buffer
      - .offset:         16
        .size:           8
        .value_kind:     by_value
      - .actual_access:  read_only
        .address_space:  global
        .offset:         24
        .size:           8
        .value_kind:     global_buffer
      - .actual_access:  read_only
        .address_space:  global
        .offset:         32
        .size:           8
        .value_kind:     global_buffer
      - .address_space:  global
        .offset:         40
        .size:           8
        .value_kind:     global_buffer
      - .actual_access:  read_only
        .address_space:  global
        .offset:         48
        .size:           8
        .value_kind:     global_buffer
      - .offset:         56
        .size:           8
        .value_kind:     by_value
      - .actual_access:  read_only
        .address_space:  global
        .offset:         64
        .size:           8
        .value_kind:     global_buffer
      - .actual_access:  read_only
        .address_space:  global
        .offset:         72
        .size:           8
        .value_kind:     global_buffer
      - .offset:         80
        .size:           8
        .value_kind:     by_value
      - .actual_access:  read_only
        .address_space:  global
        .offset:         88
        .size:           8
        .value_kind:     global_buffer
      - .offset:         96
        .size:           8
        .value_kind:     by_value
      - .offset:         104
        .size:           8
        .value_kind:     by_value
      - .offset:         112
        .size:           8
        .value_kind:     by_value
      - .offset:         120
        .size:           8
        .value_kind:     by_value
      - .offset:         128
        .size:           8
        .value_kind:     by_value
      - .offset:         136
        .size:           8
        .value_kind:     by_value
      - .offset:         144
        .size:           8
        .value_kind:     by_value
      - .offset:         152
        .size:           8
        .value_kind:     by_value
      - .offset:         160
        .size:           8
        .value_kind:     by_value
      - .offset:         168
        .size:           8
        .value_kind:     by_value
      - .offset:         176
        .size:           8
        .value_kind:     by_value
      - .offset:         184
        .size:           8
        .value_kind:     by_value
      - .actual_access:  read_only
        .address_space:  global
        .offset:         192
        .size:           8
        .value_kind:     global_buffer
      - .offset:         200
        .size:           8
        .value_kind:     by_value
      - .offset:         208
        .size:           8
        .value_kind:     by_value
      - .offset:         216
        .size:           8
        .value_kind:     by_value
      - .offset:         224
        .size:           8
        .value_kind:     by_value
      - .offset:         232
        .size:           1
        .value_kind:     by_value
      - .offset:         240
        .size:           4
        .value_kind:     hidden_block_count_x
      - .offset:         244
        .size:           4
        .value_kind:     hidden_block_count_y
      - .offset:         248
        .size:           4
        .value_kind:     hidden_block_count_z
      - .offset:         252
        .size:           2
        .value_kind:     hidden_group_size_x
      - .offset:         254
        .size:           2
        .value_kind:     hidden_group_size_y
      - .offset:         256
        .size:           2
        .value_kind:     hidden_group_size_z
      - .offset:         258
        .size:           2
        .value_kind:     hidden_remainder_x
      - .offset:         260
        .size:           2
        .value_kind:     hidden_remainder_y
      - .offset:         262
        .size:           2
        .value_kind:     hidden_remainder_z
      - .offset:         280
        .size:           8
        .value_kind:     hidden_global_offset_x
      - .offset:         288
        .size:           8
        .value_kind:     hidden_global_offset_y
      - .offset:         296
        .size:           8
        .value_kind:     hidden_global_offset_z
      - .offset:         304
        .size:           2
        .value_kind:     hidden_grid_dims
    .group_segment_fixed_size: 0
    .kernarg_segment_align: 8
    .kernarg_segment_size: 496
    .language:       OpenCL C
    .language_version:
      - 2
      - 0
    .max_flat_workgroup_size: 1024
    .name:           _ZN2at6native12_GLOBAL__N_136ctc_loss_backward_collect_gpu_kernelIflEEvPT_PKS3_lS6_S6_S6_PKllPKT0_S8_lS6_llllllllllllS8_llllb
    .private_segment_fixed_size: 0
    .sgpr_count:     50
    .sgpr_spill_count: 0
    .symbol:         _ZN2at6native12_GLOBAL__N_136ctc_loss_backward_collect_gpu_kernelIflEEvPT_PKS3_lS6_S6_S6_PKllPKT0_S8_lS6_llllllllllllS8_llllb.kd
    .uniform_work_group_size: 1
    .uses_dynamic_stack: false
    .vgpr_count:     31
    .vgpr_spill_count: 0
    .wavefront_size: 32
    .workgroup_processor_mode: 1
  - .args:
      - .actual_access:  write_only
        .address_space:  global
        .offset:         0
        .size:           8
        .value_kind:     global_buffer
      - .actual_access:  read_only
        .address_space:  global
        .offset:         8
        .size:           8
        .value_kind:     global_buffer
      - .offset:         16
        .size:           8
        .value_kind:     by_value
      - .offset:         24
        .size:           8
        .value_kind:     by_value
      - .offset:         32
        .size:           8
        .value_kind:     by_value
      - .offset:         40
        .size:           8
        .value_kind:     by_value
      - .offset:         48
        .size:           8
        .value_kind:     by_value
      - .offset:         56
        .size:           8
        .value_kind:     by_value
      - .offset:         64
        .size:           4
        .value_kind:     hidden_block_count_x
      - .offset:         68
        .size:           4
        .value_kind:     hidden_block_count_y
      - .offset:         72
        .size:           4
        .value_kind:     hidden_block_count_z
      - .offset:         76
        .size:           2
        .value_kind:     hidden_group_size_x
      - .offset:         78
        .size:           2
        .value_kind:     hidden_group_size_y
      - .offset:         80
        .size:           2
        .value_kind:     hidden_group_size_z
      - .offset:         82
        .size:           2
        .value_kind:     hidden_remainder_x
      - .offset:         84
        .size:           2
        .value_kind:     hidden_remainder_y
      - .offset:         86
        .size:           2
        .value_kind:     hidden_remainder_z
      - .offset:         104
        .size:           8
        .value_kind:     hidden_global_offset_x
      - .offset:         112
        .size:           8
        .value_kind:     hidden_global_offset_y
      - .offset:         120
        .size:           8
        .value_kind:     hidden_global_offset_z
      - .offset:         128
        .size:           2
        .value_kind:     hidden_grid_dims
    .group_segment_fixed_size: 0
    .kernarg_segment_align: 8
    .kernarg_segment_size: 320
    .language:       OpenCL C
    .language_version:
      - 2
      - 0
    .max_flat_workgroup_size: 1024
    .name:           _ZN2at6native12_GLOBAL__N_130ctc_loss_zero_padded_gradientsIfEEvPT_PKlllllll
    .private_segment_fixed_size: 0
    .sgpr_count:     22
    .sgpr_spill_count: 0
    .symbol:         _ZN2at6native12_GLOBAL__N_130ctc_loss_zero_padded_gradientsIfEEvPT_PKlllllll.kd
    .uniform_work_group_size: 1
    .uses_dynamic_stack: false
    .vgpr_count:     10
    .vgpr_spill_count: 0
    .wavefront_size: 32
    .workgroup_processor_mode: 1
  - .args:
      - .address_space:  global
        .offset:         0
        .size:           8
        .value_kind:     global_buffer
      - .address_space:  global
        .offset:         8
        .size:           8
        .value_kind:     global_buffer
      - .actual_access:  read_only
        .address_space:  global
        .offset:         16
        .size:           8
        .value_kind:     global_buffer
      - .offset:         24
        .size:           8
        .value_kind:     by_value
      - .actual_access:  read_only
        .address_space:  global
        .offset:         32
        .size:           8
        .value_kind:     global_buffer
      - .actual_access:  read_only
        .address_space:  global
        .offset:         40
        .size:           8
        .value_kind:     global_buffer
      - .offset:         48
        .size:           8
        .value_kind:     by_value
      - .offset:         56
        .size:           8
        .value_kind:     by_value
      - .offset:         64
        .size:           8
        .value_kind:     by_value
      - .offset:         72
        .size:           8
        .value_kind:     by_value
      - .offset:         80
        .size:           8
        .value_kind:     by_value
      - .offset:         88
        .size:           8
        .value_kind:     by_value
      - .offset:         96
        .size:           8
        .value_kind:     by_value
      - .actual_access:  read_only
        .address_space:  global
        .offset:         104
        .size:           8
        .value_kind:     global_buffer
      - .offset:         112
        .size:           8
        .value_kind:     by_value
      - .offset:         120
        .size:           8
        .value_kind:     by_value
      - .offset:         128
        .size:           8
        .value_kind:     by_value
      - .offset:         136
        .size:           4
        .value_kind:     hidden_block_count_x
      - .offset:         140
        .size:           4
        .value_kind:     hidden_block_count_y
      - .offset:         144
        .size:           4
        .value_kind:     hidden_block_count_z
      - .offset:         148
        .size:           2
        .value_kind:     hidden_group_size_x
      - .offset:         150
        .size:           2
        .value_kind:     hidden_group_size_y
      - .offset:         152
        .size:           2
        .value_kind:     hidden_group_size_z
      - .offset:         154
        .size:           2
        .value_kind:     hidden_remainder_x
      - .offset:         156
        .size:           2
        .value_kind:     hidden_remainder_y
      - .offset:         158
        .size:           2
        .value_kind:     hidden_remainder_z
      - .offset:         176
        .size:           8
        .value_kind:     hidden_global_offset_x
      - .offset:         184
        .size:           8
        .value_kind:     hidden_global_offset_y
      - .offset:         192
        .size:           8
        .value_kind:     hidden_global_offset_z
      - .offset:         200
        .size:           2
        .value_kind:     hidden_grid_dims
    .group_segment_fixed_size: 0
    .kernarg_segment_align: 8
    .kernarg_segment_size: 392
    .language:       OpenCL C
    .language_version:
      - 2
      - 0
    .max_flat_workgroup_size: 1024
    .name:           _ZN2at6native12_GLOBAL__N_137ctc_loss_backward_log_beta_gpu_kernelIfiEEvPT_PKS3_PKllPKT0_S8_lllllllS8_lll
    .private_segment_fixed_size: 0
    .sgpr_count:     39
    .sgpr_spill_count: 0
    .symbol:         _ZN2at6native12_GLOBAL__N_137ctc_loss_backward_log_beta_gpu_kernelIfiEEvPT_PKS3_PKllPKT0_S8_lllllllS8_lll.kd
    .uniform_work_group_size: 1
    .uses_dynamic_stack: false
    .vgpr_count:     49
    .vgpr_spill_count: 0
    .wavefront_size: 32
    .workgroup_processor_mode: 1
  - .args:
      - .address_space:  global
        .offset:         0
        .size:           8
        .value_kind:     global_buffer
      - .actual_access:  read_only
        .address_space:  global
        .offset:         8
        .size:           8
        .value_kind:     global_buffer
      - .offset:         16
        .size:           8
        .value_kind:     by_value
      - .actual_access:  read_only
        .address_space:  global
        .offset:         24
        .size:           8
        .value_kind:     global_buffer
      - .actual_access:  read_only
        .address_space:  global
        .offset:         32
        .size:           8
        .value_kind:     global_buffer
      - .address_space:  global
        .offset:         40
        .size:           8
        .value_kind:     global_buffer
      - .actual_access:  read_only
        .address_space:  global
        .offset:         48
        .size:           8
        .value_kind:     global_buffer
      - .actual_access:  read_only
        .address_space:  global
        .offset:         56
        .size:           8
        .value_kind:     global_buffer
      - .actual_access:  read_only
        .address_space:  global
        .offset:         64
        .size:           8
        .value_kind:     global_buffer
      - .actual_access:  read_only
        .address_space:  global
        .offset:         72
        .size:           8
        .value_kind:     global_buffer
      - .offset:         80
        .size:           8
        .value_kind:     by_value
      - .offset:         88
        .size:           8
        .value_kind:     by_value
      - .offset:         96
        .size:           8
        .value_kind:     by_value
      - .offset:         104
        .size:           8
        .value_kind:     by_value
      - .offset:         112
        .size:           8
        .value_kind:     by_value
      - .offset:         120
        .size:           8
        .value_kind:     by_value
      - .offset:         128
        .size:           8
        .value_kind:     by_value
      - .offset:         136
        .size:           8
        .value_kind:     by_value
      - .offset:         144
        .size:           8
        .value_kind:     by_value
      - .offset:         152
        .size:           8
        .value_kind:     by_value
      - .offset:         160
        .size:           8
        .value_kind:     by_value
      - .offset:         168
        .size:           8
        .value_kind:     by_value
      - .actual_access:  read_only
        .address_space:  global
        .offset:         176
        .size:           8
        .value_kind:     global_buffer
      - .offset:         184
        .size:           8
        .value_kind:     by_value
      - .offset:         192
        .size:           8
        .value_kind:     by_value
      - .offset:         200
        .size:           1
        .value_kind:     by_value
      - .offset:         208
        .size:           4
        .value_kind:     hidden_block_count_x
      - .offset:         212
        .size:           4
        .value_kind:     hidden_block_count_y
      - .offset:         216
        .size:           4
        .value_kind:     hidden_block_count_z
      - .offset:         220
        .size:           2
        .value_kind:     hidden_group_size_x
      - .offset:         222
        .size:           2
        .value_kind:     hidden_group_size_y
      - .offset:         224
        .size:           2
        .value_kind:     hidden_group_size_z
      - .offset:         226
        .size:           2
        .value_kind:     hidden_remainder_x
      - .offset:         228
        .size:           2
        .value_kind:     hidden_remainder_y
      - .offset:         230
        .size:           2
        .value_kind:     hidden_remainder_z
      - .offset:         248
        .size:           8
        .value_kind:     hidden_global_offset_x
      - .offset:         256
        .size:           8
        .value_kind:     hidden_global_offset_y
      - .offset:         264
        .size:           8
        .value_kind:     hidden_global_offset_z
      - .offset:         272
        .size:           2
        .value_kind:     hidden_grid_dims
    .group_segment_fixed_size: 0
    .kernarg_segment_align: 8
    .kernarg_segment_size: 464
    .language:       OpenCL C
    .language_version:
      - 2
      - 0
    .max_flat_workgroup_size: 1024
    .name:           _ZN2at6native12_GLOBAL__N_145ctc_loss_backward_collect_nonblank_gpu_kernelIfiEEvPT_PKS3_lS6_S6_S6_PKlPKT0_S8_S6_llllllllllllS8_llb
    .private_segment_fixed_size: 0
    .sgpr_count:     46
    .sgpr_spill_count: 0
    .symbol:         _ZN2at6native12_GLOBAL__N_145ctc_loss_backward_collect_nonblank_gpu_kernelIfiEEvPT_PKS3_lS6_S6_S6_PKlPKT0_S8_S6_llllllllllllS8_llb.kd
    .uniform_work_group_size: 1
    .uses_dynamic_stack: false
    .vgpr_count:     27
    .vgpr_spill_count: 0
    .wavefront_size: 32
    .workgroup_processor_mode: 1
  - .args:
      - .address_space:  global
        .offset:         0
        .size:           8
        .value_kind:     global_buffer
      - .actual_access:  read_only
        .address_space:  global
        .offset:         8
        .size:           8
        .value_kind:     global_buffer
      - .offset:         16
        .size:           8
        .value_kind:     by_value
      - .actual_access:  read_only
        .address_space:  global
        .offset:         24
        .size:           8
        .value_kind:     global_buffer
      - .actual_access:  read_only
        .address_space:  global
        .offset:         32
        .size:           8
        .value_kind:     global_buffer
      - .address_space:  global
        .offset:         40
        .size:           8
        .value_kind:     global_buffer
      - .actual_access:  read_only
        .address_space:  global
        .offset:         48
        .size:           8
        .value_kind:     global_buffer
      - .offset:         56
        .size:           8
        .value_kind:     by_value
      - .actual_access:  read_only
        .address_space:  global
        .offset:         64
        .size:           8
        .value_kind:     global_buffer
      - .actual_access:  read_only
        .address_space:  global
        .offset:         72
        .size:           8
        .value_kind:     global_buffer
      - .offset:         80
        .size:           8
        .value_kind:     by_value
      - .actual_access:  read_only
        .address_space:  global
        .offset:         88
        .size:           8
        .value_kind:     global_buffer
      - .offset:         96
        .size:           8
        .value_kind:     by_value
      - .offset:         104
        .size:           8
        .value_kind:     by_value
      - .offset:         112
        .size:           8
        .value_kind:     by_value
      - .offset:         120
        .size:           8
        .value_kind:     by_value
      - .offset:         128
        .size:           8
        .value_kind:     by_value
      - .offset:         136
        .size:           8
        .value_kind:     by_value
      - .offset:         144
        .size:           8
        .value_kind:     by_value
      - .offset:         152
        .size:           8
        .value_kind:     by_value
      - .offset:         160
        .size:           8
        .value_kind:     by_value
      - .offset:         168
        .size:           8
        .value_kind:     by_value
      - .offset:         176
        .size:           8
        .value_kind:     by_value
      - .offset:         184
        .size:           8
        .value_kind:     by_value
      - .actual_access:  read_only
        .address_space:  global
        .offset:         192
        .size:           8
        .value_kind:     global_buffer
      - .offset:         200
        .size:           8
        .value_kind:     by_value
      - .offset:         208
        .size:           8
        .value_kind:     by_value
      - .offset:         216
        .size:           8
        .value_kind:     by_value
      - .offset:         224
        .size:           8
        .value_kind:     by_value
      - .offset:         232
        .size:           1
        .value_kind:     by_value
      - .offset:         240
        .size:           4
        .value_kind:     hidden_block_count_x
      - .offset:         244
        .size:           4
        .value_kind:     hidden_block_count_y
      - .offset:         248
        .size:           4
        .value_kind:     hidden_block_count_z
      - .offset:         252
        .size:           2
        .value_kind:     hidden_group_size_x
      - .offset:         254
        .size:           2
        .value_kind:     hidden_group_size_y
      - .offset:         256
        .size:           2
        .value_kind:     hidden_group_size_z
      - .offset:         258
        .size:           2
        .value_kind:     hidden_remainder_x
      - .offset:         260
        .size:           2
        .value_kind:     hidden_remainder_y
      - .offset:         262
        .size:           2
        .value_kind:     hidden_remainder_z
      - .offset:         280
        .size:           8
        .value_kind:     hidden_global_offset_x
      - .offset:         288
        .size:           8
        .value_kind:     hidden_global_offset_y
      - .offset:         296
        .size:           8
        .value_kind:     hidden_global_offset_z
      - .offset:         304
        .size:           2
        .value_kind:     hidden_grid_dims
    .group_segment_fixed_size: 0
    .kernarg_segment_align: 8
    .kernarg_segment_size: 496
    .language:       OpenCL C
    .language_version:
      - 2
      - 0
    .max_flat_workgroup_size: 1024
    .name:           _ZN2at6native12_GLOBAL__N_136ctc_loss_backward_collect_gpu_kernelIfiEEvPT_PKS3_lS6_S6_S6_PKllPKT0_S8_lS6_llllllllllllS8_llllb
    .private_segment_fixed_size: 0
    .sgpr_count:     50
    .sgpr_spill_count: 0
    .symbol:         _ZN2at6native12_GLOBAL__N_136ctc_loss_backward_collect_gpu_kernelIfiEEvPT_PKS3_lS6_S6_S6_PKllPKT0_S8_lS6_llllllllllllS8_llllb.kd
    .uniform_work_group_size: 1
    .uses_dynamic_stack: false
    .vgpr_count:     31
    .vgpr_spill_count: 0
    .wavefront_size: 32
    .workgroup_processor_mode: 1
amdhsa.target:   amdgcn-amd-amdhsa--gfx1100
amdhsa.version:
  - 1
  - 2
...

	.end_amdgpu_metadata
